;; amdgpu-corpus repo=ROCm/rocFFT kind=compiled arch=gfx1030 opt=O3
	.text
	.amdgcn_target "amdgcn-amd-amdhsa--gfx1030"
	.amdhsa_code_object_version 6
	.protected	bluestein_single_fwd_len833_dim1_sp_op_CI_CI ; -- Begin function bluestein_single_fwd_len833_dim1_sp_op_CI_CI
	.globl	bluestein_single_fwd_len833_dim1_sp_op_CI_CI
	.p2align	8
	.type	bluestein_single_fwd_len833_dim1_sp_op_CI_CI,@function
bluestein_single_fwd_len833_dim1_sp_op_CI_CI: ; @bluestein_single_fwd_len833_dim1_sp_op_CI_CI
; %bb.0:
	s_load_dwordx4 s[0:3], s[4:5], 0x28
	v_mul_u32_u24_e32 v1, 0x227, v0
	v_mov_b32_e32 v57, 0
	v_lshrrev_b32_e32 v1, 16, v1
	v_add_nc_u32_e32 v56, s6, v1
	s_waitcnt lgkmcnt(0)
	v_cmp_gt_u64_e32 vcc_lo, s[0:1], v[56:57]
	s_and_saveexec_b32 s0, vcc_lo
	s_cbranch_execz .LBB0_15
; %bb.1:
	s_clause 0x1
	s_load_dwordx2 s[12:13], s[4:5], 0x0
	s_load_dwordx2 s[14:15], s[4:5], 0x38
	v_mul_lo_u16 v1, 0x77, v1
	v_sub_nc_u16 v0, v0, v1
	v_and_b32_e32 v74, 0xffff, v0
	v_cmp_gt_u16_e32 vcc_lo, 49, v0
	v_lshlrev_b32_e32 v73, 3, v74
	s_and_saveexec_b32 s1, vcc_lo
	s_cbranch_execz .LBB0_3
; %bb.2:
	s_load_dwordx2 s[6:7], s[4:5], 0x18
	s_waitcnt lgkmcnt(0)
	v_add_co_u32 v22, s0, s12, v73
	v_add_co_ci_u32_e64 v23, null, s13, 0, s0
	v_add_nc_u32_e32 v75, 0xc00, v73
	v_add_nc_u32_e32 v76, 0x1000, v73
	s_load_dwordx4 s[8:11], s[6:7], 0x0
	s_clause 0x2
	global_load_dwordx2 v[4:5], v73, s[12:13]
	global_load_dwordx2 v[6:7], v73, s[12:13] offset:392
	global_load_dwordx2 v[8:9], v73, s[12:13] offset:784
	s_waitcnt lgkmcnt(0)
	v_mad_u64_u32 v[0:1], null, s10, v56, 0
	v_mad_u64_u32 v[2:3], null, s8, v74, 0
	s_mul_i32 s6, s9, 0x188
	s_mul_hi_u32 s7, s8, 0x188
	s_add_i32 s7, s7, s6
	v_mad_u64_u32 v[10:11], null, s11, v56, v[1:2]
	s_clause 0x2
	global_load_dwordx2 v[11:12], v73, s[12:13] offset:1176
	global_load_dwordx2 v[13:14], v73, s[12:13] offset:1568
	;; [unrolled: 1-line block ×3, first 2 shown]
	v_mov_b32_e32 v1, v10
	v_lshlrev_b64 v[0:1], 3, v[0:1]
	s_waitcnt vmcnt(5)
	v_mad_u64_u32 v[17:18], null, s9, v74, v[3:4]
	v_add_co_u32 v18, s0, 0x800, v22
	v_add_co_ci_u32_e64 v19, s0, 0, v23, s0
	v_add_co_u32 v20, s0, 0x1000, v22
	v_mov_b32_e32 v3, v17
	v_add_co_ci_u32_e64 v21, s0, 0, v23, s0
	v_add_co_u32 v22, s0, 0x1800, v22
	v_add_co_ci_u32_e64 v23, s0, 0, v23, s0
	v_lshlrev_b64 v[2:3], 3, v[2:3]
	v_add_co_u32 v0, s0, s2, v0
	v_add_co_ci_u32_e64 v1, s0, s3, v1, s0
	s_mul_i32 s2, s8, 0x188
	v_add_co_u32 v0, s0, v0, v2
	v_add_co_ci_u32_e64 v1, s0, v1, v3, s0
	s_clause 0x3
	global_load_dwordx2 v[24:25], v[18:19], off offset:304
	global_load_dwordx2 v[26:27], v[18:19], off offset:696
	;; [unrolled: 1-line block ×4, first 2 shown]
	v_add_co_u32 v2, s0, v0, s2
	v_add_co_ci_u32_e64 v3, s0, s7, v1, s0
	global_load_dwordx2 v[17:18], v[18:19], off offset:1872
	v_add_co_u32 v32, s0, v2, s2
	v_add_co_ci_u32_e64 v33, s0, s7, v3, s0
	s_clause 0x3
	global_load_dwordx2 v[36:37], v[20:21], off offset:216
	global_load_dwordx2 v[38:39], v[20:21], off offset:608
	;; [unrolled: 1-line block ×4, first 2 shown]
	v_add_co_u32 v34, s0, v32, s2
	v_add_co_ci_u32_e64 v35, s0, s7, v33, s0
	v_add_co_u32 v44, s0, v34, s2
	v_add_co_ci_u32_e64 v45, s0, s7, v35, s0
	s_clause 0x3
	global_load_dwordx2 v[0:1], v[0:1], off
	global_load_dwordx2 v[2:3], v[2:3], off
	;; [unrolled: 1-line block ×4, first 2 shown]
	v_add_co_u32 v46, s0, v44, s2
	v_add_co_ci_u32_e64 v47, s0, s7, v45, s0
	global_load_dwordx2 v[44:45], v[44:45], off
	v_add_co_u32 v48, s0, v46, s2
	v_add_co_ci_u32_e64 v49, s0, s7, v47, s0
	global_load_dwordx2 v[46:47], v[46:47], off
	;; [unrolled: 3-line block ×11, first 2 shown]
	v_add_co_u32 v69, s0, v67, s2
	v_add_co_ci_u32_e64 v70, s0, s7, v68, s0
	global_load_dwordx2 v[19:20], v[20:21], off offset:1784
	global_load_dwordx2 v[67:68], v[67:68], off
	global_load_dwordx2 v[21:22], v[22:23], off offset:128
	global_load_dwordx2 v[69:70], v[69:70], off
	v_add_nc_u32_e32 v23, 0x800, v73
	s_waitcnt vmcnt(18)
	v_mul_f32_e32 v71, v1, v5
	v_mul_f32_e32 v10, v0, v5
	s_waitcnt vmcnt(17)
	v_mul_f32_e32 v5, v2, v7
	v_fmac_f32_e32 v71, v0, v4
	v_mul_f32_e32 v0, v3, v7
	v_fma_f32 v72, v1, v4, -v10
	v_fma_f32 v1, v3, v6, -v5
	s_waitcnt vmcnt(16)
	v_mul_f32_e32 v4, v32, v9
	v_mul_f32_e32 v3, v33, v9
	s_waitcnt vmcnt(15)
	v_mul_f32_e32 v7, v34, v12
	v_mul_f32_e32 v5, v35, v12
	v_fmac_f32_e32 v0, v2, v6
	v_fma_f32 v4, v33, v8, -v4
	v_fmac_f32_e32 v3, v32, v8
	v_fma_f32 v6, v35, v11, -v7
	v_fmac_f32_e32 v5, v34, v11
	s_waitcnt vmcnt(14)
	v_mul_f32_e32 v7, v44, v14
	v_mul_f32_e32 v2, v45, v14
	ds_write2_b64 v73, v[71:72], v[0:1] offset1:49
	s_waitcnt vmcnt(13)
	v_mul_f32_e32 v0, v47, v16
	v_mul_f32_e32 v1, v46, v16
	ds_write2_b64 v73, v[3:4], v[5:6] offset0:98 offset1:147
	v_fma_f32 v3, v45, v13, -v7
	s_waitcnt vmcnt(12)
	v_mul_f32_e32 v5, v48, v25
	v_mul_f32_e32 v4, v49, v25
	s_waitcnt vmcnt(11)
	v_mul_f32_e32 v6, v51, v27
	v_mul_f32_e32 v7, v50, v27
	v_fmac_f32_e32 v2, v44, v13
	v_fmac_f32_e32 v0, v46, v15
	v_fma_f32 v1, v47, v15, -v1
	v_fma_f32 v5, v49, v24, -v5
	v_fmac_f32_e32 v4, v48, v24
	v_fmac_f32_e32 v6, v50, v26
	v_fma_f32 v7, v51, v26, -v7
	ds_write2_b64 v73, v[2:3], v[0:1] offset0:196 offset1:245
	s_waitcnt vmcnt(10)
	v_mul_f32_e32 v8, v53, v29
	s_waitcnt vmcnt(8)
	v_mul_f32_e32 v2, v58, v18
	v_mul_f32_e32 v3, v57, v18
	;; [unrolled: 1-line block ×5, first 2 shown]
	ds_write2_b64 v23, v[4:5], v[6:7] offset0:38 offset1:87
	s_waitcnt vmcnt(7)
	v_mul_f32_e32 v4, v60, v37
	v_mul_f32_e32 v5, v59, v37
	v_fmac_f32_e32 v2, v57, v17
	v_fma_f32 v3, v58, v17, -v3
	s_waitcnt vmcnt(6)
	v_mul_f32_e32 v6, v62, v39
	v_mul_f32_e32 v7, v61, v39
	v_fmac_f32_e32 v8, v52, v28
	v_fma_f32 v9, v53, v28, -v9
	v_fmac_f32_e32 v0, v54, v30
	s_waitcnt vmcnt(5)
	v_mul_f32_e32 v10, v64, v41
	v_mul_f32_e32 v11, v63, v41
	v_fma_f32 v1, v55, v30, -v1
	v_fmac_f32_e32 v4, v59, v36
	v_fma_f32 v5, v60, v36, -v5
	s_waitcnt vmcnt(4)
	v_mul_f32_e32 v12, v66, v43
	v_mul_f32_e32 v13, v65, v43
	v_fmac_f32_e32 v6, v61, v38
	s_waitcnt vmcnt(2)
	v_mul_f32_e32 v14, v68, v20
	v_mul_f32_e32 v15, v67, v20
	s_waitcnt vmcnt(0)
	v_mul_f32_e32 v16, v70, v22
	v_mul_f32_e32 v17, v69, v22
	v_fma_f32 v7, v62, v38, -v7
	v_fmac_f32_e32 v10, v63, v40
	v_fma_f32 v11, v64, v40, -v11
	v_fmac_f32_e32 v12, v65, v42
	;; [unrolled: 2-line block ×4, first 2 shown]
	v_fma_f32 v17, v70, v21, -v17
	ds_write2_b64 v23, v[8:9], v[0:1] offset0:136 offset1:185
	ds_write2_b64 v75, v[2:3], v[4:5] offset0:106 offset1:155
	;; [unrolled: 1-line block ×4, first 2 shown]
	ds_write_b64 v73, v[16:17] offset:6272
.LBB0_3:
	s_or_b32 exec_lo, exec_lo, s1
	s_clause 0x1
	s_load_dwordx2 s[2:3], s[4:5], 0x20
	s_load_dwordx2 s[0:1], s[4:5], 0x8
	v_mov_b32_e32 v16, 0
	v_mov_b32_e32 v17, 0
	s_waitcnt lgkmcnt(0)
	s_barrier
	buffer_gl0_inv
                                        ; implicit-def: $vgpr38
                                        ; implicit-def: $vgpr32
                                        ; implicit-def: $vgpr20
                                        ; implicit-def: $vgpr24
                                        ; implicit-def: $vgpr12
                                        ; implicit-def: $vgpr42
                                        ; implicit-def: $vgpr50
                                        ; implicit-def: $vgpr46
	s_and_saveexec_b32 s4, vcc_lo
	s_cbranch_execz .LBB0_5
; %bb.4:
	v_add_nc_u32_e32 v0, 0x800, v73
	v_add_nc_u32_e32 v1, 0xc00, v73
	;; [unrolled: 1-line block ×3, first 2 shown]
	ds_read2_b64 v[16:19], v73 offset1:49
	ds_read2_b64 v[44:47], v73 offset0:98 offset1:147
	ds_read2_b64 v[48:51], v73 offset0:196 offset1:245
	ds_read2_b64 v[40:43], v0 offset0:38 offset1:87
	ds_read2_b64 v[36:39], v0 offset0:136 offset1:185
	ds_read2_b64 v[32:35], v1 offset0:106 offset1:155
	ds_read2_b64 v[20:23], v2 offset0:76 offset1:125
	ds_read2_b64 v[24:27], v2 offset0:174 offset1:223
	ds_read_b64 v[12:13], v73 offset:6272
.LBB0_5:
	s_or_b32 exec_lo, exec_lo, s4
	s_waitcnt lgkmcnt(0)
	v_sub_f32_e32 v9, v19, v13
	v_add_f32_e32 v69, v12, v18
	v_sub_f32_e32 v8, v18, v12
	v_sub_f32_e32 v29, v45, v27
	v_add_f32_e32 v70, v13, v19
	v_mul_f32_e32 v53, 0xbeb8f4ab, v9
	v_add_f32_e32 v72, v26, v44
	v_sub_f32_e32 v28, v44, v26
	v_mul_f32_e32 v55, 0xbeb8f4ab, v8
	v_mul_f32_e32 v52, 0xbf2c7751, v29
	v_fmamk_f32 v0, v69, 0x3f6eb680, v53
	v_sub_f32_e32 v31, v47, v25
	v_add_f32_e32 v76, v27, v45
	v_mul_f32_e32 v54, 0xbf2c7751, v28
	v_fma_f32 v1, 0x3f6eb680, v70, -v55
	v_fmamk_f32 v2, v72, 0x3f3d2fb0, v52
	v_add_f32_e32 v0, v0, v16
	v_sub_f32_e32 v30, v46, v24
	v_add_f32_e32 v78, v24, v46
	v_mul_f32_e32 v59, 0xbf65296c, v31
	v_sub_f32_e32 v75, v49, v23
	v_fma_f32 v3, 0x3f3d2fb0, v76, -v54
	v_add_f32_e32 v1, v1, v17
	v_add_f32_e32 v0, v2, v0
	;; [unrolled: 1-line block ×3, first 2 shown]
	v_mul_f32_e32 v60, 0xbf65296c, v30
	v_fmamk_f32 v2, v78, 0x3ee437d1, v59
	v_sub_f32_e32 v111, v48, v22
	v_add_f32_e32 v82, v22, v48
	v_mul_f32_e32 v61, 0xbf7ee86f, v75
	v_sub_f32_e32 v122, v51, v21
	v_add_f32_e32 v1, v3, v1
	v_fma_f32 v3, 0x3ee437d1, v79, -v60
	v_add_f32_e32 v85, v23, v49
	v_mul_f32_e32 v62, 0xbf7ee86f, v111
	v_add_f32_e32 v0, v2, v0
	v_fmamk_f32 v2, v82, 0x3dbcf732, v61
	v_add_f32_e32 v98, v20, v50
	v_mul_f32_e32 v63, 0xbf763a35, v122
	v_sub_f32_e32 v123, v50, v20
	v_sub_f32_e32 v125, v41, v35
	v_add_f32_e32 v1, v3, v1
	v_fma_f32 v3, 0x3dbcf732, v85, -v62
	v_add_f32_e32 v0, v2, v0
	v_fmamk_f32 v2, v98, 0xbe8c1d8e, v63
	v_add_f32_e32 v104, v21, v51
	v_mul_f32_e32 v65, 0xbf763a35, v123
	v_add_f32_e32 v99, v34, v40
	v_mul_f32_e32 v64, 0xbf4c4adb, v125
	v_sub_f32_e32 v126, v40, v34
	v_sub_f32_e32 v139, v43, v33
	v_add_f32_e32 v1, v3, v1
	v_add_f32_e32 v0, v2, v0
	v_fma_f32 v2, 0xbe8c1d8e, v104, -v65
	v_fmamk_f32 v3, v99, 0xbf1a4643, v64
	v_add_f32_e32 v112, v35, v41
	v_mul_f32_e32 v67, 0xbf4c4adb, v126
	v_add_f32_e32 v109, v32, v42
	v_mul_f32_e32 v66, 0xbf06c442, v139
	v_sub_f32_e32 v142, v42, v32
	v_add_f32_e32 v1, v2, v1
	v_fma_f32 v2, 0xbf1a4643, v112, -v67
	v_add_f32_e32 v0, v3, v0
	v_fmamk_f32 v3, v109, 0xbf59a7d5, v66
	v_add_f32_e32 v110, v33, v43
	v_mul_f32_e32 v68, 0xbf06c442, v142
	v_sub_f32_e32 v145, v37, v39
	v_mul_f32_e32 v86, 0xbf2c7751, v9
	v_add_f32_e32 v1, v2, v1
	v_add_f32_e32 v0, v3, v0
	v_fma_f32 v2, 0xbf59a7d5, v110, -v68
	v_add_f32_e32 v117, v38, v36
	v_mul_f32_e32 v71, 0xbe3c28d5, v145
	v_fmamk_f32 v3, v69, 0x3f3d2fb0, v86
	v_mul_f32_e32 v87, 0xbf7ee86f, v29
	v_mul_f32_e32 v94, 0xbf2c7751, v8
	v_add_f32_e32 v1, v2, v1
	v_fmamk_f32 v2, v117, 0xbf7ba420, v71
	v_add_f32_e32 v3, v3, v16
	v_fmamk_f32 v4, v72, 0x3dbcf732, v87
	v_fma_f32 v5, 0x3f3d2fb0, v70, -v94
	v_mul_f32_e32 v96, 0xbf7ee86f, v28
	v_mul_f32_e32 v88, 0xbf4c4adb, v31
	v_add_f32_e32 v57, v2, v0
	v_add_f32_e32 v0, v4, v3
	;; [unrolled: 1-line block ×3, first 2 shown]
	v_fma_f32 v3, 0x3dbcf732, v76, -v96
	v_fmamk_f32 v4, v78, 0xbf1a4643, v88
	v_mul_f32_e32 v92, 0xbf4c4adb, v30
	v_mul_f32_e32 v90, 0xbe3c28d5, v75
	;; [unrolled: 1-line block ×3, first 2 shown]
	v_add_f32_e32 v2, v3, v2
	v_add_f32_e32 v0, v4, v0
	v_fma_f32 v3, 0xbf1a4643, v79, -v92
	v_fmamk_f32 v4, v82, 0xbf7ba420, v90
	v_mul_f32_e32 v91, 0x3f06c442, v122
	v_mul_f32_e32 v95, 0x3f06c442, v123
	;; [unrolled: 1-line block ×3, first 2 shown]
	v_add_f32_e32 v2, v3, v2
	v_add_f32_e32 v0, v4, v0
	v_fma_f32 v3, 0xbf7ba420, v85, -v93
	v_fmamk_f32 v4, v98, 0xbf59a7d5, v91
	v_sub_f32_e32 v147, v36, v38
	v_mul_f32_e32 v97, 0x3f763a35, v126
	v_mul_f32_e32 v105, 0xbf65296c, v9
	v_add_f32_e32 v2, v3, v2
	v_fma_f32 v3, 0xbf59a7d5, v104, -v95
	v_add_f32_e32 v0, v4, v0
	v_fmamk_f32 v4, v99, 0xbe8c1d8e, v80
	v_add_f32_e32 v124, v39, v37
	v_mul_f32_e32 v77, 0xbe3c28d5, v147
	v_add_f32_e32 v2, v3, v2
	v_fma_f32 v3, 0xbe8c1d8e, v112, -v97
	v_add_f32_e32 v0, v4, v0
	v_mul_f32_e32 v81, 0x3f65296c, v139
	v_mul_f32_e32 v84, 0x3f65296c, v142
	v_fmamk_f32 v4, v69, 0x3ee437d1, v105
	v_mul_f32_e32 v106, 0xbf4c4adb, v29
	v_fma_f32 v5, 0xbf7ba420, v124, -v77
	v_add_f32_e32 v2, v3, v2
	v_fmamk_f32 v3, v109, 0x3ee437d1, v81
	v_fma_f32 v6, 0x3ee437d1, v110, -v84
	v_add_f32_e32 v4, v4, v16
	v_fmamk_f32 v7, v72, 0xbf1a4643, v106
	v_mul_f32_e32 v107, 0x3e3c28d5, v31
	v_mul_f32_e32 v114, 0xbf65296c, v8
	v_add_f32_e32 v58, v5, v1
	v_add_f32_e32 v0, v3, v0
	;; [unrolled: 1-line block ×4, first 2 shown]
	v_fmamk_f32 v3, v78, 0xbf7ba420, v107
	v_mul_f32_e32 v100, 0x3f763a35, v75
	v_fma_f32 v5, 0x3ee437d1, v70, -v114
	v_mul_f32_e32 v115, 0xbf4c4adb, v28
	v_mul_f32_e32 v101, 0x3f2c7751, v122
	v_add_f32_e32 v2, v3, v2
	v_fmamk_f32 v3, v82, 0xbe8c1d8e, v100
	v_add_f32_e32 v5, v5, v17
	v_fma_f32 v6, 0xbf1a4643, v76, -v115
	v_mul_f32_e32 v116, 0x3e3c28d5, v30
	v_mul_f32_e32 v83, 0x3eb8f4ab, v145
	v_add_f32_e32 v2, v3, v2
	v_fmamk_f32 v3, v98, 0x3f3d2fb0, v101
	v_mul_f32_e32 v102, 0xbeb8f4ab, v125
	v_add_f32_e32 v5, v6, v5
	v_fma_f32 v6, 0xbf7ba420, v79, -v116
	v_mul_f32_e32 v118, 0x3f763a35, v111
	v_mul_f32_e32 v89, 0x3eb8f4ab, v147
	v_fmamk_f32 v4, v117, 0x3f6eb680, v83
	v_add_f32_e32 v2, v3, v2
	v_fmamk_f32 v3, v99, 0x3f6eb680, v102
	v_mul_f32_e32 v103, 0xbf7ee86f, v139
	v_add_f32_e32 v5, v6, v5
	v_fma_f32 v6, 0xbe8c1d8e, v85, -v118
	v_mul_f32_e32 v119, 0x3f2c7751, v123
	v_fma_f32 v7, 0x3f6eb680, v124, -v89
	v_add_f32_e32 v3, v3, v2
	v_fmamk_f32 v10, v109, 0x3dbcf732, v103
	v_add_f32_e32 v2, v4, v0
	v_mul_f32_e32 v108, 0xbf06c442, v145
	v_add_f32_e32 v4, v6, v5
	v_fma_f32 v5, 0x3f3d2fb0, v104, -v119
	v_mul_f32_e32 v113, 0xbeb8f4ab, v126
	v_mul_f32_e32 v129, 0xbf7ee86f, v9
	v_add_f32_e32 v0, v10, v3
	v_fmamk_f32 v6, v117, 0xbf59a7d5, v108
	v_add_f32_e32 v3, v7, v1
	v_add_f32_e32 v1, v5, v4
	v_fma_f32 v4, 0x3f6eb680, v112, -v113
	v_fmamk_f32 v5, v69, 0x3dbcf732, v129
	v_mul_f32_e32 v130, 0xbe3c28d5, v29
	v_mul_f32_e32 v138, 0xbf7ee86f, v8
	v_add_f32_e32 v0, v6, v0
	v_add_f32_e32 v1, v4, v1
	v_mul_f32_e32 v120, 0xbf7ee86f, v142
	v_add_f32_e32 v4, v5, v16
	v_fmamk_f32 v5, v72, 0xbf7ba420, v130
	v_fma_f32 v6, 0x3dbcf732, v70, -v138
	v_mul_f32_e32 v140, 0xbe3c28d5, v28
	v_mul_f32_e32 v127, 0x3f763a35, v31
	v_fma_f32 v7, 0x3dbcf732, v110, -v120
	v_add_f32_e32 v4, v5, v4
	v_add_f32_e32 v5, v6, v17
	v_fma_f32 v6, 0xbf7ba420, v76, -v140
	v_fmamk_f32 v10, v78, 0xbe8c1d8e, v127
	v_mul_f32_e32 v141, 0x3f763a35, v30
	v_mul_f32_e32 v128, 0x3eb8f4ab, v75
	v_add_f32_e32 v1, v7, v1
	v_add_f32_e32 v5, v6, v5
	;; [unrolled: 1-line block ×3, first 2 shown]
	v_fma_f32 v6, 0xbe8c1d8e, v79, -v141
	v_fmamk_f32 v7, v82, 0x3f6eb680, v128
	v_mul_f32_e32 v137, 0x3eb8f4ab, v111
	v_mul_f32_e32 v131, 0xbf65296c, v122
	;; [unrolled: 1-line block ×3, first 2 shown]
	v_add_f32_e32 v5, v6, v5
	v_add_f32_e32 v4, v7, v4
	v_fma_f32 v6, 0x3f6eb680, v85, -v137
	v_fmamk_f32 v7, v98, 0x3ee437d1, v131
	v_mul_f32_e32 v132, 0xbf06c442, v125
	v_mul_f32_e32 v136, 0xbf06c442, v126
	;; [unrolled: 1-line block ×3, first 2 shown]
	v_add_f32_e32 v5, v6, v5
	v_fma_f32 v6, 0x3ee437d1, v104, -v134
	v_add_f32_e32 v4, v7, v4
	v_fmamk_f32 v7, v99, 0xbf59a7d5, v132
	v_mul_f32_e32 v133, 0x3f4c4adb, v139
	v_mul_f32_e32 v149, 0x3f06c442, v29
	v_add_f32_e32 v5, v6, v5
	v_fma_f32 v6, 0xbf59a7d5, v112, -v136
	v_add_f32_e32 v4, v7, v4
	v_fmamk_f32 v7, v69, 0xbe8c1d8e, v148
	v_fmamk_f32 v11, v72, 0xbf59a7d5, v149
	v_mul_f32_e32 v150, 0x3f2c7751, v31
	v_add_f32_e32 v5, v6, v5
	v_fmamk_f32 v6, v109, 0xbf1a4643, v133
	v_add_f32_e32 v7, v7, v16
	v_mul_f32_e32 v151, 0xbf65296c, v75
	v_mul_f32_e32 v121, 0xbf06c442, v147
	;; [unrolled: 1-line block ×3, first 2 shown]
	v_add_f32_e32 v4, v6, v4
	v_add_f32_e32 v6, v11, v7
	v_fmamk_f32 v7, v78, 0x3f3d2fb0, v150
	v_mul_f32_e32 v154, 0xbe3c28d5, v122
	v_fma_f32 v10, 0xbf59a7d5, v124, -v121
	v_mul_f32_e32 v143, 0x3f4c4adb, v142
	v_fma_f32 v14, 0xbe8c1d8e, v70, -v158
	v_add_f32_e32 v6, v7, v6
	v_fmamk_f32 v7, v82, 0x3ee437d1, v151
	v_mul_f32_e32 v159, 0x3f06c442, v28
	v_mul_f32_e32 v152, 0x3f7ee86f, v125
	v_add_f32_e32 v1, v10, v1
	v_fma_f32 v10, 0xbf1a4643, v110, -v143
	v_add_f32_e32 v6, v7, v6
	v_fmamk_f32 v7, v98, 0xbf7ba420, v154
	v_mul_f32_e32 v135, 0x3f2c7751, v145
	v_add_f32_e32 v14, v14, v17
	v_fma_f32 v15, 0xbf59a7d5, v76, -v159
	v_mul_f32_e32 v155, 0x3f2c7751, v30
	v_add_f32_e32 v6, v7, v6
	v_fmamk_f32 v7, v99, 0x3dbcf732, v152
	v_mul_f32_e32 v153, 0xbeb8f4ab, v139
	v_add_f32_e32 v5, v10, v5
	v_fmamk_f32 v10, v117, 0x3f3d2fb0, v135
	v_add_f32_e32 v14, v15, v14
	v_fma_f32 v15, 0x3f3d2fb0, v79, -v155
	v_mul_f32_e32 v156, 0xbf65296c, v111
	v_add_f32_e32 v7, v7, v6
	v_fmamk_f32 v160, v109, 0x3f6eb680, v153
	v_mul_f32_e32 v146, 0xbf4c4adb, v145
	v_mul_f32_e32 v144, 0x3f2c7751, v147
	v_add_f32_e32 v14, v15, v14
	v_fma_f32 v15, 0x3ee437d1, v85, -v156
	v_mul_f32_e32 v157, 0xbe3c28d5, v123
	v_add_f32_e32 v6, v10, v4
	v_add_f32_e32 v4, v160, v7
	v_fmamk_f32 v10, v117, 0xbf1a4643, v146
	v_mul_f32_e32 v169, 0xbf4c4adb, v9
	v_fma_f32 v11, 0x3f3d2fb0, v124, -v144
	v_add_f32_e32 v14, v15, v14
	v_fma_f32 v15, 0xbf7ba420, v104, -v157
	v_add_f32_e32 v4, v10, v4
	v_mul_f32_e32 v171, 0xbf4c4adb, v8
	v_mul_f32_e32 v160, 0x3f7ee86f, v126
	v_fmamk_f32 v10, v69, 0xbf1a4643, v169
	v_mul_f32_e32 v170, 0x3f763a35, v29
	v_add_f32_e32 v7, v11, v5
	v_add_f32_e32 v5, v15, v14
	v_fma_f32 v11, 0xbf1a4643, v70, -v171
	v_mul_f32_e32 v172, 0x3f763a35, v28
	v_fma_f32 v14, 0x3dbcf732, v112, -v160
	v_add_f32_e32 v10, v10, v16
	v_fmamk_f32 v15, v72, 0xbe8c1d8e, v170
	v_mul_f32_e32 v167, 0xbeb8f4ab, v31
	v_add_f32_e32 v11, v11, v17
	v_fma_f32 v161, 0xbe8c1d8e, v76, -v172
	v_mul_f32_e32 v173, 0xbeb8f4ab, v30
	v_add_f32_e32 v5, v14, v5
	v_add_f32_e32 v10, v15, v10
	v_fmamk_f32 v14, v78, 0x3f6eb680, v167
	v_mul_f32_e32 v164, 0xbf06c442, v75
	v_add_f32_e32 v11, v161, v11
	v_fma_f32 v15, 0x3f6eb680, v79, -v173
	v_mul_f32_e32 v175, 0xbf06c442, v111
	v_add_f32_e32 v10, v14, v10
	v_fmamk_f32 v14, v82, 0xbf59a7d5, v164
	v_mul_f32_e32 v165, 0x3f7ee86f, v122
	v_mul_f32_e32 v161, 0xbeb8f4ab, v142
	v_add_f32_e32 v11, v15, v11
	v_fma_f32 v15, 0xbf59a7d5, v85, -v175
	v_mul_f32_e32 v176, 0x3f7ee86f, v123
	v_add_f32_e32 v10, v14, v10
	v_fmamk_f32 v14, v98, 0x3dbcf732, v165
	v_mul_f32_e32 v166, 0xbf2c7751, v125
	v_fma_f32 v162, 0x3f6eb680, v110, -v161
	v_add_f32_e32 v11, v15, v11
	v_fma_f32 v15, 0x3dbcf732, v104, -v176
	v_mul_f32_e32 v178, 0xbf2c7751, v126
	v_add_f32_e32 v10, v14, v10
	v_fmamk_f32 v14, v99, 0x3f3d2fb0, v166
	v_mul_f32_e32 v168, 0xbe3c28d5, v139
	v_add_f32_e32 v5, v162, v5
	v_add_f32_e32 v11, v15, v11
	v_fma_f32 v15, 0x3f3d2fb0, v112, -v178
	v_mul_f32_e32 v177, 0xbe3c28d5, v142
	v_mul_f32_e32 v162, 0xbf4c4adb, v147
	v_add_f32_e32 v10, v14, v10
	v_fmamk_f32 v14, v109, 0xbf7ba420, v168
	v_add_f32_e32 v11, v15, v11
	v_fma_f32 v15, 0xbf7ba420, v110, -v177
	v_mul_f32_e32 v163, 0x3f65296c, v145
	v_fma_f32 v179, 0xbf1a4643, v124, -v162
	v_add_f32_e32 v10, v14, v10
	v_mul_f32_e32 v14, 0xbf06c442, v9
	v_add_f32_e32 v11, v15, v11
	v_fmamk_f32 v15, v117, 0x3ee437d1, v163
	v_mul_f32_e32 v181, 0xbf06c442, v8
	v_add_f32_e32 v5, v179, v5
	v_fma_f32 v179, 0xbf59a7d5, v69, -v14
	v_mul_f32_e32 v182, 0x3f65296c, v29
	v_add_f32_e32 v10, v15, v10
	v_fmamk_f32 v15, v70, 0xbf59a7d5, v181
	v_mul_f32_e32 v183, 0x3f65296c, v28
	v_add_f32_e32 v179, v179, v16
	v_fma_f32 v184, 0x3ee437d1, v72, -v182
	;; [unrolled: 6-line block ×3, first 2 shown]
	v_mul_f32_e32 v188, 0x3f4c4adb, v75
	v_mul_f32_e32 v174, 0x3f65296c, v147
	v_add_f32_e32 v15, v186, v15
	v_fmamk_f32 v186, v79, 0x3dbcf732, v187
	v_mul_f32_e32 v189, 0x3f4c4adb, v111
	v_add_f32_e32 v179, v184, v179
	v_fma_f32 v184, 0xbf1a4643, v82, -v188
	v_mul_f32_e32 v190, 0xbeb8f4ab, v122
	v_fma_f32 v180, 0x3ee437d1, v124, -v174
	v_add_f32_e32 v15, v186, v15
	v_fmamk_f32 v186, v85, 0xbf1a4643, v189
	v_mul_f32_e32 v191, 0xbeb8f4ab, v123
	v_add_f32_e32 v179, v184, v179
	v_fma_f32 v184, 0x3f6eb680, v98, -v190
	v_add_f32_e32 v11, v180, v11
	v_add_f32_e32 v15, v186, v15
	v_fmamk_f32 v180, v104, 0x3f6eb680, v191
	v_fmac_f32_e32 v14, 0xbf59a7d5, v69
	v_add_f32_e32 v179, v184, v179
	v_mul_f32_e32 v184, 0xbe3c28d5, v125
	v_mul_f32_e32 v186, 0xbe3c28d5, v126
	v_add_f32_e32 v15, v180, v15
	v_add_f32_e32 v14, v14, v16
	v_fmac_f32_e32 v182, 0x3ee437d1, v72
	v_fma_f32 v180, 0xbf7ba420, v99, -v184
	v_mul_f32_e32 v193, 0x3f2c7751, v139
	v_fmamk_f32 v192, v112, 0xbf7ba420, v186
	v_mul_f32_e32 v194, 0x3f2c7751, v142
	v_add_f32_e32 v14, v182, v14
	v_fmac_f32_e32 v185, 0x3dbcf732, v78
	v_add_f32_e32 v179, v180, v179
	v_fma_f32 v180, 0x3f3d2fb0, v109, -v193
	v_add_f32_e32 v15, v192, v15
	v_fmamk_f32 v182, v110, 0x3f3d2fb0, v194
	v_add_f32_e32 v14, v185, v14
	v_fmac_f32_e32 v188, 0xbf1a4643, v82
	v_add_f32_e32 v179, v180, v179
	v_fma_f32 v180, 0xbf59a7d5, v70, -v181
	v_add_f32_e32 v15, v182, v15
	v_mul_f32_e32 v181, 0xbf763a35, v145
	v_add_f32_e32 v14, v188, v14
	v_fmac_f32_e32 v190, 0x3f6eb680, v98
	v_add_f32_e32 v180, v180, v17
	v_fma_f32 v182, 0x3ee437d1, v76, -v183
	v_fma_f32 v185, 0xbe8c1d8e, v117, -v181
	v_fmac_f32_e32 v184, 0xbf7ba420, v99
	v_add_f32_e32 v188, v190, v14
	v_fmac_f32_e32 v193, 0x3f3d2fb0, v109
	v_add_f32_e32 v180, v182, v180
	v_fma_f32 v182, 0x3dbcf732, v79, -v187
	v_add_f32_e32 v14, v185, v179
	v_add_f32_e32 v179, v184, v188
	v_mul_f32_e32 v9, 0xbe3c28d5, v9
	v_fmac_f32_e32 v181, 0xbe8c1d8e, v117
	v_add_f32_e32 v180, v182, v180
	v_fma_f32 v182, 0xbf1a4643, v85, -v189
	v_add_f32_e32 v179, v193, v179
	v_fma_f32 v184, 0xbf7ba420, v69, -v9
	v_mul_f32_e32 v29, 0x3eb8f4ab, v29
	v_mul_f32_e32 v185, 0xbe3c28d5, v8
	v_add_f32_e32 v180, v182, v180
	v_fma_f32 v182, 0x3f6eb680, v104, -v191
	v_add_f32_e32 v8, v181, v179
	v_fma_f32 v181, 0x3f6eb680, v72, -v29
	v_mul_f32_e32 v28, 0x3eb8f4ab, v28
	v_mul_f32_e32 v30, 0xbf06c442, v30
	v_add_f32_e32 v179, v182, v180
	v_add_f32_e32 v180, v184, v16
	v_fmamk_f32 v182, v70, 0xbf7ba420, v185
	v_mul_f32_e32 v31, 0xbf06c442, v31
	v_mul_f32_e32 v111, 0x3f2c7751, v111
	v_fma_f32 v184, 0xbf7ba420, v112, -v186
	v_add_f32_e32 v180, v181, v180
	v_add_f32_e32 v181, v182, v17
	v_fmamk_f32 v182, v76, 0x3f6eb680, v28
	v_fma_f32 v186, 0xbf59a7d5, v78, -v31
	v_mul_f32_e32 v75, 0x3f2c7751, v75
	v_add_f32_e32 v179, v184, v179
	v_mul_f32_e32 v122, 0xbf4c4adb, v122
	v_add_f32_e32 v181, v182, v181
	v_fmamk_f32 v182, v79, 0xbf59a7d5, v30
	v_add_f32_e32 v180, v186, v180
	v_fma_f32 v184, 0x3f3d2fb0, v82, -v75
	v_fmac_f32_e32 v9, 0xbf7ba420, v69
	v_mul_f32_e32 v123, 0xbf4c4adb, v123
	v_add_f32_e32 v181, v182, v181
	v_fmamk_f32 v182, v85, 0x3f3d2fb0, v111
	v_add_f32_e32 v180, v184, v180
	v_fma_f32 v184, 0xbf1a4643, v98, -v122
	v_add_f32_e32 v9, v9, v16
	v_fmac_f32_e32 v29, 0x3f6eb680, v72
	v_add_f32_e32 v181, v182, v181
	v_fma_f32 v182, 0xbf7ba420, v70, -v185
	v_fma_f32 v28, 0x3f6eb680, v76, -v28
	v_add_f32_e32 v180, v184, v180
	v_fmamk_f32 v184, v104, 0xbf1a4643, v123
	v_mul_f32_e32 v126, 0x3f65296c, v126
	v_add_f32_e32 v182, v182, v17
	v_add_f32_e32 v9, v29, v9
	v_fmac_f32_e32 v31, 0xbf59a7d5, v78
	v_fma_f32 v29, 0xbf59a7d5, v79, -v30
	v_add_f32_e32 v30, v184, v181
	v_add_f32_e32 v28, v28, v182
	v_fmamk_f32 v181, v112, 0x3ee437d1, v126
	v_add_f32_e32 v9, v31, v9
	v_fmac_f32_e32 v75, 0x3f3d2fb0, v82
	v_fma_f32 v31, 0x3f3d2fb0, v85, -v111
	v_add_f32_e32 v28, v29, v28
	v_mul_f32_e32 v111, 0xbf763a35, v142
	v_mul_f32_e32 v125, 0x3f65296c, v125
	v_add_f32_e32 v30, v181, v30
	v_add_f32_e32 v9, v75, v9
	;; [unrolled: 1-line block ×3, first 2 shown]
	v_fmamk_f32 v31, v110, 0xbe8c1d8e, v111
	v_fmac_f32_e32 v122, 0xbf1a4643, v98
	v_fma_f32 v123, 0xbf1a4643, v104, -v123
	v_fma_f32 v185, 0x3ee437d1, v99, -v125
	v_mul_f32_e32 v29, 0xbf763a35, v139
	v_add_f32_e32 v30, v31, v30
	v_add_f32_e32 v9, v122, v9
	v_fmac_f32_e32 v125, 0x3ee437d1, v99
	v_add_f32_e32 v28, v123, v28
	v_fma_f32 v31, 0x3ee437d1, v112, -v126
	v_mul_f32_e32 v183, 0xbf763a35, v147
	v_fma_f32 v186, 0x3f3d2fb0, v110, -v194
	v_add_f32_e32 v180, v185, v180
	v_fma_f32 v75, 0xbe8c1d8e, v109, -v29
	v_mul_f32_e32 v122, 0x3f7ee86f, v145
	v_mul_f32_e32 v123, 0x3f7ee86f, v147
	v_add_f32_e32 v9, v125, v9
	v_fmac_f32_e32 v29, 0xbe8c1d8e, v109
	v_add_f32_e32 v28, v31, v28
	v_fma_f32 v31, 0xbe8c1d8e, v110, -v111
	v_fmamk_f32 v187, v124, 0xbe8c1d8e, v183
	v_add_f32_e32 v179, v186, v179
	v_fma_f32 v139, 0xbe8c1d8e, v124, -v183
	v_add_f32_e32 v75, v75, v180
	v_fma_f32 v111, 0x3dbcf732, v117, -v122
	v_fmamk_f32 v125, v124, 0x3dbcf732, v123
	v_add_f32_e32 v126, v29, v9
	v_fmac_f32_e32 v122, 0x3dbcf732, v117
	v_add_f32_e32 v31, v31, v28
	v_fma_f32 v123, 0x3dbcf732, v124, -v123
	v_add_f32_e32 v15, v187, v15
	v_add_f32_e32 v9, v139, v179
	;; [unrolled: 1-line block ×6, first 2 shown]
	v_mul_lo_u16 v75, v74, 17
	s_barrier
	buffer_gl0_inv
	s_and_saveexec_b32 s4, vcc_lo
	s_cbranch_execz .LBB0_7
; %bb.6:
	v_mul_f32_e32 v122, 0x3f6eb680, v70
	v_mul_f32_e32 v125, 0x3f3d2fb0, v70
	;; [unrolled: 1-line block ×12, first 2 shown]
	v_add_f32_e32 v70, v171, v70
	v_mul_f32_e32 v191, 0x3ee437d1, v79
	v_mul_f32_e32 v193, 0xbf1a4643, v79
	v_mul_f32_e32 v195, 0xbf7ba420, v79
	v_mul_f32_e32 v197, 0xbe8c1d8e, v79
	v_mul_f32_e32 v199, 0x3f3d2fb0, v79
	v_mul_f32_e32 v79, 0x3f6eb680, v79
	v_add_f32_e32 v70, v70, v17
	v_add_f32_e32 v76, v172, v76
	v_mul_f32_e32 v201, 0x3dbcf732, v85
	v_mul_f32_e32 v203, 0xbf7ba420, v85
	v_mul_f32_e32 v205, 0xbe8c1d8e, v85
	v_mul_f32_e32 v207, 0x3f6eb680, v85
	v_mul_f32_e32 v209, 0x3ee437d1, v85
	v_mul_f32_e32 v85, 0xbf59a7d5, v85
	v_add_f32_e32 v70, v76, v70
	;; [unrolled: 8-line block ×3, first 2 shown]
	v_add_f32_e32 v76, v175, v85
	v_mul_f32_e32 v111, 0x3f6eb680, v69
	v_mul_f32_e32 v123, 0x3f3d2fb0, v69
	;; [unrolled: 1-line block ×12, first 2 shown]
	v_add_f32_e32 v70, v76, v70
	v_add_f32_e32 v76, v176, v104
	v_mul_f32_e32 v180, 0x3f3d2fb0, v72
	v_mul_f32_e32 v182, 0x3dbcf732, v72
	;; [unrolled: 1-line block ×12, first 2 shown]
	v_add_f32_e32 v70, v76, v70
	v_add_f32_e32 v76, v178, v112
	v_sub_f32_e32 v69, v69, v169
	v_mul_f32_e32 v190, 0x3ee437d1, v78
	v_mul_f32_e32 v192, 0xbf1a4643, v78
	v_mul_f32_e32 v194, 0xbf7ba420, v78
	v_mul_f32_e32 v196, 0xbe8c1d8e, v78
	v_mul_f32_e32 v198, 0x3f3d2fb0, v78
	v_mul_f32_e32 v78, 0x3f6eb680, v78
	v_mul_f32_e32 v175, 0xbf7ba420, v124
	v_mul_f32_e32 v237, 0x3f6eb680, v124
	v_mul_f32_e32 v176, 0xbf59a7d5, v124
	v_mul_f32_e32 v239, 0x3f3d2fb0, v124
	v_mul_f32_e32 v169, 0xbf1a4643, v124
	v_mul_f32_e32 v124, 0x3ee437d1, v124
	v_add_f32_e32 v70, v76, v70
	v_add_f32_e32 v76, v177, v110
	;; [unrolled: 1-line block ×3, first 2 shown]
	v_sub_f32_e32 v72, v72, v170
	v_mul_f32_e32 v200, 0x3dbcf732, v82
	v_mul_f32_e32 v202, 0xbf7ba420, v82
	;; [unrolled: 1-line block ×12, first 2 shown]
	v_add_f32_e32 v117, v158, v179
	v_add_f32_e32 v70, v76, v70
	;; [unrolled: 1-line block ×4, first 2 shown]
	v_sub_f32_e32 v78, v78, v167
	v_mul_f32_e32 v210, 0xbe8c1d8e, v98
	v_mul_f32_e32 v212, 0xbf59a7d5, v98
	;; [unrolled: 1-line block ×6, first 2 shown]
	v_add_f32_e32 v117, v117, v17
	v_add_f32_e32 v124, v159, v189
	;; [unrolled: 1-line block ×3, first 2 shown]
	v_sub_f32_e32 v70, v147, v148
	v_add_f32_e32 v72, v78, v72
	v_sub_f32_e32 v76, v82, v164
	v_sub_f32_e32 v86, v123, v86
	v_mul_f32_e32 v220, 0xbf1a4643, v99
	v_mul_f32_e32 v222, 0xbe8c1d8e, v99
	;; [unrolled: 1-line block ×6, first 2 shown]
	v_add_f32_e32 v78, v124, v117
	v_add_f32_e32 v82, v155, v199
	;; [unrolled: 1-line block ×3, first 2 shown]
	v_sub_f32_e32 v117, v188, v149
	v_add_f32_e32 v72, v76, v72
	v_sub_f32_e32 v76, v98, v165
	v_add_f32_e32 v86, v86, v16
	v_sub_f32_e32 v87, v182, v87
	v_mul_f32_e32 v171, 0xbf59a7d5, v109
	v_mul_f32_e32 v231, 0x3ee437d1, v109
	;; [unrolled: 1-line block ×6, first 2 shown]
	v_add_f32_e32 v78, v82, v78
	v_add_f32_e32 v82, v156, v209
	;; [unrolled: 1-line block ×3, first 2 shown]
	v_sub_f32_e32 v98, v198, v150
	v_add_f32_e32 v72, v76, v72
	v_sub_f32_e32 v76, v99, v166
	v_add_f32_e32 v94, v94, v125
	v_add_f32_e32 v86, v87, v86
	v_sub_f32_e32 v87, v192, v88
	v_add_f32_e32 v78, v82, v78
	v_add_f32_e32 v82, v157, v219
	;; [unrolled: 1-line block ×3, first 2 shown]
	v_sub_f32_e32 v98, v208, v151
	v_add_f32_e32 v72, v76, v72
	v_sub_f32_e32 v76, v109, v168
	v_add_f32_e32 v94, v94, v17
	v_add_f32_e32 v96, v96, v183
	v_add_f32_e32 v86, v87, v86
	v_sub_f32_e32 v87, v202, v90
	v_add_f32_e32 v19, v19, v17
	v_add_f32_e32 v18, v18, v16
	v_add_f32_e32 v78, v82, v78
	v_add_f32_e32 v82, v160, v229
	v_add_f32_e32 v70, v98, v70
	v_sub_f32_e32 v98, v218, v154
	v_add_f32_e32 v76, v76, v72
	v_add_f32_e32 v72, v138, v145
	;; [unrolled: 6-line block ×6, first 2 shown]
	v_sub_f32_e32 v109, v110, v163
	v_sub_f32_e32 v110, v142, v129
	v_add_f32_e32 v92, v93, v92
	v_add_f32_e32 v93, v95, v213
	;; [unrolled: 1-line block ×3, first 2 shown]
	v_sub_f32_e32 v46, v231, v81
	v_add_f32_e32 v19, v49, v19
	v_add_f32_e32 v47, v48, v18
	;; [unrolled: 1-line block ×7, first 2 shown]
	v_sub_f32_e32 v98, v186, v130
	v_add_f32_e32 v110, v114, v139
	v_add_f32_e32 v92, v93, v92
	;; [unrolled: 1-line block ×6, first 2 shown]
	v_sub_f32_e32 v99, v112, v146
	v_add_f32_e32 v72, v78, v72
	v_add_f32_e32 v78, v134, v217
	;; [unrolled: 1-line block ×3, first 2 shown]
	v_sub_f32_e32 v98, v196, v127
	v_add_f32_e32 v110, v110, v17
	v_add_f32_e32 v112, v115, v185
	;; [unrolled: 1-line block ×9, first 2 shown]
	v_sub_f32_e32 v98, v206, v128
	v_add_f32_e32 v110, v112, v110
	v_add_f32_e32 v112, v116, v195
	;; [unrolled: 1-line block ×9, first 2 shown]
	v_sub_f32_e32 v98, v216, v131
	v_add_f32_e32 v110, v112, v110
	v_add_f32_e32 v112, v118, v205
	v_sub_f32_e32 v105, v126, v105
	v_add_f32_e32 v18, v80, v45
	v_add_f32_e32 v45, v55, v122
	;; [unrolled: 3-line block ×3, first 2 shown]
	v_add_f32_e32 v78, v99, v70
	v_add_f32_e32 v70, v114, v72
	;; [unrolled: 1-line block ×3, first 2 shown]
	v_sub_f32_e32 v82, v226, v132
	v_add_f32_e32 v98, v112, v110
	v_add_f32_e32 v99, v119, v215
	;; [unrolled: 1-line block ×6, first 2 shown]
	v_sub_f32_e32 v45, v180, v52
	v_add_f32_e32 v19, v39, v19
	v_add_f32_e32 v36, v38, v36
	;; [unrolled: 1-line block ×4, first 2 shown]
	v_sub_f32_e32 v112, v234, v133
	v_add_f32_e32 v98, v99, v98
	v_add_f32_e32 v99, v113, v225
	v_sub_f32_e32 v106, v184, v106
	v_add_f32_e32 v17, v41, v17
	v_add_f32_e32 v41, v60, v191
	;; [unrolled: 1-line block ×3, first 2 shown]
	v_sub_f32_e32 v37, v190, v59
	v_add_f32_e32 v19, v33, v19
	v_add_f32_e32 v32, v32, v36
	;; [unrolled: 1-line block ×7, first 2 shown]
	v_sub_f32_e32 v105, v194, v107
	v_add_f32_e32 v17, v41, v17
	v_add_f32_e32 v40, v62, v201
	;; [unrolled: 1-line block ×3, first 2 shown]
	v_sub_f32_e32 v37, v200, v61
	v_add_f32_e32 v19, v35, v19
	v_add_f32_e32 v32, v34, v32
	;; [unrolled: 1-line block ×5, first 2 shown]
	v_sub_f32_e32 v100, v204, v100
	v_add_f32_e32 v17, v40, v17
	v_add_f32_e32 v33, v65, v211
	;; [unrolled: 1-line block ×3, first 2 shown]
	v_sub_f32_e32 v36, v210, v63
	v_add_f32_e32 v19, v21, v19
	v_add_f32_e32 v20, v20, v32
	v_add_f32_e32 v82, v98, v82
	v_add_f32_e32 v98, v100, v99
	v_sub_f32_e32 v99, v214, v101
	v_add_f32_e32 v17, v33, v17
	v_add_f32_e32 v33, v67, v221
	v_add_f32_e32 v16, v36, v16
	v_sub_f32_e32 v21, v220, v64
	v_add_f32_e32 v19, v23, v19
	v_add_f32_e32 v20, v22, v20
	v_add_f32_e32 v96, v99, v98
	;; [unrolled: 4-line block ×5, first 2 shown]
	v_sub_f32_e32 v21, v85, v71
	v_add_f32_e32 v23, v27, v19
	v_add_f32_e32 v24, v26, v20
	v_mov_b32_e32 v25, 3
	v_add_f32_e32 v88, v94, v88
	v_sub_f32_e32 v90, v104, v108
	v_sub_f32_e32 v47, v236, v83
	;; [unrolled: 1-line block ×3, first 2 shown]
	v_add_f32_e32 v20, v22, v17
	v_add_f32_e32 v19, v21, v16
	;; [unrolled: 1-line block ×4, first 2 shown]
	v_lshlrev_b32_sdwa v16, v25, v75 dst_sel:DWORD dst_unused:UNUSED_PAD src0_sel:DWORD src1_sel:WORD_0
	v_add_f32_e32 v81, v90, v88
	v_add_f32_e32 v17, v47, v44
	;; [unrolled: 1-line block ×4, first 2 shown]
	ds_write2_b64 v16, v[12:13], v[19:20] offset1:1
	ds_write2_b64 v16, v[17:18], v[81:82] offset0:2 offset1:3
	ds_write2_b64 v16, v[71:72], v[78:79] offset0:4 offset1:5
	ds_write2_b64 v16, v[68:69], v[14:15] offset0:6 offset1:7
	ds_write2_b64 v16, v[28:29], v[30:31] offset0:8 offset1:9
	ds_write2_b64 v16, v[8:9], v[10:11] offset0:10 offset1:11
	ds_write2_b64 v16, v[4:5], v[6:7] offset0:12 offset1:13
	ds_write2_b64 v16, v[0:1], v[2:3] offset0:14 offset1:15
	ds_write_b64 v16, v[57:58] offset:128
.LBB0_7:
	s_or_b32 exec_lo, exec_lo, s4
	v_and_b32_e32 v12, 0xff, v74
	s_load_dwordx4 s[4:7], s[2:3], 0x0
	s_waitcnt lgkmcnt(0)
	s_barrier
	buffer_gl0_inv
	v_mul_lo_u16 v12, 0xf1, v12
	v_add_nc_u32_e32 v60, 0x400, v73
	v_add_nc_u32_e32 v59, 0xc00, v73
	v_mov_b32_e32 v45, 0x77
	v_lshrrev_b16 v44, 12, v12
	v_mul_lo_u16 v12, v44, 17
	v_mul_u32_u24_sdwa v47, v44, v45 dst_sel:DWORD dst_unused:UNUSED_PAD src0_sel:WORD_0 src1_sel:DWORD
	v_mad_u64_u32 v[44:45], null, v74, 48, s[0:1]
	v_sub_nc_u16 v12, v74, v12
	v_and_b32_e32 v46, 0xff, v12
	v_mul_u32_u24_e32 v12, 6, v46
	v_add_lshl_u32 v76, v47, v46, 3
	v_lshlrev_b32_e32 v12, 3, v12
	s_clause 0x2
	global_load_dwordx4 v[24:27], v12, s[0:1]
	global_load_dwordx4 v[20:23], v12, s[0:1] offset:16
	global_load_dwordx4 v[16:19], v12, s[0:1] offset:32
	ds_read2_b64 v[32:35], v73 offset1:119
	ds_read2_b64 v[36:39], v60 offset0:110 offset1:229
	ds_read2_b64 v[40:43], v59 offset0:92 offset1:211
	ds_read_b64 v[12:13], v73 offset:5712
	s_waitcnt vmcnt(0) lgkmcnt(0)
	s_barrier
	buffer_gl0_inv
	v_mul_f32_e32 v46, v35, v25
	v_mul_f32_e32 v47, v34, v25
	;; [unrolled: 1-line block ×12, first 2 shown]
	v_fma_f32 v34, v34, v24, -v46
	v_fmac_f32_e32 v47, v35, v24
	v_fma_f32 v35, v36, v26, -v48
	v_fmac_f32_e32 v49, v37, v26
	;; [unrolled: 2-line block ×6, first 2 shown]
	v_add_f32_e32 v38, v34, v12
	v_add_f32_e32 v39, v47, v62
	;; [unrolled: 1-line block ×4, first 2 shown]
	v_sub_f32_e32 v12, v34, v12
	v_sub_f32_e32 v34, v47, v62
	v_sub_f32_e32 v13, v35, v13
	v_sub_f32_e32 v35, v49, v55
	v_add_f32_e32 v42, v36, v37
	v_add_f32_e32 v43, v51, v53
	v_sub_f32_e32 v36, v37, v36
	v_sub_f32_e32 v37, v53, v51
	v_add_f32_e32 v46, v40, v38
	v_add_f32_e32 v47, v41, v39
	v_sub_f32_e32 v48, v40, v38
	v_sub_f32_e32 v49, v41, v39
	;; [unrolled: 1-line block ×6, first 2 shown]
	v_add_f32_e32 v50, v36, v13
	v_add_f32_e32 v51, v37, v35
	v_sub_f32_e32 v52, v36, v13
	v_sub_f32_e32 v53, v37, v35
	;; [unrolled: 1-line block ×3, first 2 shown]
	v_add_f32_e32 v42, v42, v46
	v_add_f32_e32 v43, v43, v47
	v_sub_f32_e32 v35, v35, v34
	v_sub_f32_e32 v36, v12, v36
	;; [unrolled: 1-line block ×3, first 2 shown]
	v_add_f32_e32 v46, v50, v12
	v_add_f32_e32 v34, v51, v34
	v_mul_f32_e32 v38, 0x3f4a47b2, v38
	v_mul_f32_e32 v39, 0x3f4a47b2, v39
	;; [unrolled: 1-line block ×7, first 2 shown]
	v_add_f32_e32 v12, v32, v42
	v_add_f32_e32 v13, v33, v43
	v_mul_f32_e32 v55, 0x3f5ff5aa, v35
	v_fmamk_f32 v32, v40, 0x3d64c772, v38
	v_fmamk_f32 v33, v41, 0x3d64c772, v39
	v_fma_f32 v40, 0x3f3bfb3b, v48, -v47
	v_fma_f32 v41, 0x3f3bfb3b, v49, -v50
	;; [unrolled: 1-line block ×4, first 2 shown]
	v_fmamk_f32 v47, v36, 0x3eae86e6, v51
	v_fmamk_f32 v48, v37, 0x3eae86e6, v52
	v_fma_f32 v49, 0x3f5ff5aa, v54, -v51
	v_fma_f32 v50, 0x3f5ff5aa, v35, -v52
	;; [unrolled: 1-line block ×3, first 2 shown]
	v_fmamk_f32 v35, v42, 0xbf955555, v12
	v_fmamk_f32 v36, v43, 0xbf955555, v13
	v_fma_f32 v52, 0xbeae86e6, v37, -v55
	v_fmac_f32_e32 v47, 0x3ee1c552, v46
	v_fmac_f32_e32 v48, 0x3ee1c552, v34
	v_add_f32_e32 v42, v32, v35
	v_add_f32_e32 v43, v33, v36
	v_fmac_f32_e32 v49, 0x3ee1c552, v46
	v_fmac_f32_e32 v50, 0x3ee1c552, v34
	;; [unrolled: 1-line block ×4, first 2 shown]
	v_add_f32_e32 v40, v40, v35
	v_add_f32_e32 v46, v38, v35
	;; [unrolled: 1-line block ×5, first 2 shown]
	v_sub_f32_e32 v33, v43, v47
	v_add_f32_e32 v34, v52, v46
	v_sub_f32_e32 v35, v53, v51
	v_sub_f32_e32 v36, v40, v50
	v_add_f32_e32 v37, v49, v39
	v_add_f32_e32 v38, v50, v40
	v_sub_f32_e32 v39, v39, v49
	v_sub_f32_e32 v40, v46, v52
	v_add_f32_e32 v41, v51, v53
	v_sub_f32_e32 v42, v42, v48
	v_add_f32_e32 v43, v47, v43
	ds_write2_b64 v76, v[12:13], v[32:33] offset1:17
	ds_write2_b64 v76, v[34:35], v[36:37] offset0:34 offset1:51
	ds_write2_b64 v76, v[38:39], v[40:41] offset0:68 offset1:85
	ds_write_b64 v76, v[42:43] offset:816
	s_waitcnt lgkmcnt(0)
	s_barrier
	buffer_gl0_inv
	s_clause 0x2
	global_load_dwordx4 v[40:43], v[44:45], off offset:816
	global_load_dwordx4 v[36:39], v[44:45], off offset:832
	;; [unrolled: 1-line block ×3, first 2 shown]
	ds_read2_b64 v[44:47], v73 offset1:119
	ds_read2_b64 v[48:51], v60 offset0:110 offset1:229
	ds_read2_b64 v[52:55], v59 offset0:92 offset1:211
	ds_read_b64 v[12:13], v73 offset:5712
	s_waitcnt vmcnt(2) lgkmcnt(3)
	v_mul_f32_e32 v61, v47, v41
	v_mul_f32_e32 v62, v46, v41
	s_waitcnt lgkmcnt(2)
	v_mul_f32_e32 v63, v49, v43
	v_mul_f32_e32 v64, v48, v43
	s_waitcnt vmcnt(0) lgkmcnt(1)
	v_mul_f32_e32 v69, v55, v33
	v_mul_f32_e32 v70, v54, v33
	s_waitcnt lgkmcnt(0)
	v_mul_f32_e32 v71, v13, v35
	v_mul_f32_e32 v72, v12, v35
	;; [unrolled: 1-line block ×6, first 2 shown]
	v_fma_f32 v46, v46, v40, -v61
	v_fmac_f32_e32 v62, v47, v40
	v_fma_f32 v47, v48, v42, -v63
	v_fmac_f32_e32 v64, v49, v42
	;; [unrolled: 2-line block ×6, first 2 shown]
	v_add_f32_e32 v50, v46, v12
	v_add_f32_e32 v51, v62, v72
	;; [unrolled: 1-line block ×4, first 2 shown]
	v_sub_f32_e32 v12, v46, v12
	v_sub_f32_e32 v46, v62, v72
	;; [unrolled: 1-line block ×4, first 2 shown]
	v_add_f32_e32 v54, v48, v49
	v_add_f32_e32 v55, v66, v68
	v_sub_f32_e32 v48, v49, v48
	v_sub_f32_e32 v49, v68, v66
	v_add_f32_e32 v61, v52, v50
	v_add_f32_e32 v62, v53, v51
	v_sub_f32_e32 v63, v52, v50
	v_sub_f32_e32 v64, v53, v51
	;; [unrolled: 1-line block ×6, first 2 shown]
	v_add_f32_e32 v65, v48, v13
	v_add_f32_e32 v66, v49, v47
	v_sub_f32_e32 v67, v48, v13
	v_sub_f32_e32 v68, v49, v47
	;; [unrolled: 1-line block ×4, first 2 shown]
	v_add_f32_e32 v54, v54, v61
	v_add_f32_e32 v55, v55, v62
	v_sub_f32_e32 v48, v12, v48
	v_sub_f32_e32 v49, v46, v49
	v_add_f32_e32 v12, v65, v12
	v_add_f32_e32 v46, v66, v46
	v_mul_f32_e32 v50, 0x3f4a47b2, v50
	v_mul_f32_e32 v51, 0x3f4a47b2, v51
	v_mul_f32_e32 v61, 0x3d64c772, v52
	v_mul_f32_e32 v62, 0x3d64c772, v53
	v_mul_f32_e32 v65, 0xbf08b237, v67
	v_mul_f32_e32 v66, 0xbf08b237, v68
	v_mul_f32_e32 v67, 0x3f5ff5aa, v13
	v_mul_f32_e32 v68, 0x3f5ff5aa, v47
	v_add_f32_e32 v44, v44, v54
	v_add_f32_e32 v45, v45, v55
	v_fmamk_f32 v52, v52, 0x3d64c772, v50
	v_fmamk_f32 v53, v53, 0x3d64c772, v51
	v_fma_f32 v61, 0x3f3bfb3b, v63, -v61
	v_fma_f32 v62, 0x3f3bfb3b, v64, -v62
	;; [unrolled: 1-line block ×4, first 2 shown]
	v_fmamk_f32 v63, v48, 0x3eae86e6, v65
	v_fmamk_f32 v64, v49, 0x3eae86e6, v66
	v_fma_f32 v13, 0x3f5ff5aa, v13, -v65
	v_fma_f32 v65, 0x3f5ff5aa, v47, -v66
	;; [unrolled: 1-line block ×4, first 2 shown]
	v_fmamk_f32 v47, v54, 0xbf955555, v44
	v_fmamk_f32 v48, v55, 0xbf955555, v45
	v_fmac_f32_e32 v63, 0x3ee1c552, v12
	v_fmac_f32_e32 v64, 0x3ee1c552, v46
	;; [unrolled: 1-line block ×6, first 2 shown]
	v_add_f32_e32 v12, v52, v47
	v_add_f32_e32 v68, v53, v48
	;; [unrolled: 1-line block ×7, first 2 shown]
	v_sub_f32_e32 v47, v68, v63
	v_add_f32_e32 v48, v67, v54
	v_sub_f32_e32 v49, v55, v66
	v_sub_f32_e32 v50, v52, v65
	v_add_f32_e32 v51, v13, v53
	v_add_f32_e32 v52, v65, v52
	v_sub_f32_e32 v53, v53, v13
	v_sub_f32_e32 v54, v54, v67
	v_add_f32_e32 v55, v66, v55
	v_sub_f32_e32 v12, v12, v64
	v_add_f32_e32 v13, v63, v68
	ds_write2_b64 v73, v[44:45], v[46:47] offset1:119
	ds_write2_b64 v60, v[48:49], v[50:51] offset0:110 offset1:229
	ds_write2_b64 v59, v[52:53], v[54:55] offset0:92 offset1:211
	ds_write_b64 v73, v[12:13] offset:5712
	s_waitcnt lgkmcnt(0)
	s_barrier
	buffer_gl0_inv
	s_and_saveexec_b32 s1, vcc_lo
	s_cbranch_execz .LBB0_9
; %bb.8:
	v_add_co_u32 v68, s0, s12, v73
	v_add_co_ci_u32_e64 v69, null, s13, 0, s0
	v_add_nc_u32_e32 v127, 0x800, v73
	v_add_co_u32 v60, s0, 0x1800, v68
	v_add_co_ci_u32_e64 v61, s0, 0, v69, s0
	v_add_co_u32 v62, s0, 0x1a08, v68
	v_add_co_ci_u32_e64 v63, s0, 0, v69, s0
	v_add_nc_u32_e32 v128, 0x1000, v73
	s_clause 0x1
	global_load_dwordx2 v[64:65], v[60:61], off offset:520
	global_load_dwordx2 v[66:67], v[62:63], off offset:392
	v_add_co_u32 v60, s0, 0x2000, v68
	v_add_co_ci_u32_e64 v61, s0, 0, v69, s0
	s_clause 0x5
	global_load_dwordx2 v[93:94], v[62:63], off offset:784
	global_load_dwordx2 v[95:96], v[62:63], off offset:1176
	;; [unrolled: 1-line block ×6, first 2 shown]
	v_add_co_u32 v62, s0, 0x2800, v68
	v_add_co_ci_u32_e64 v63, s0, 0, v69, s0
	s_clause 0x4
	global_load_dwordx2 v[105:106], v[60:61], off offset:1608
	global_load_dwordx2 v[107:108], v[60:61], off offset:2000
	;; [unrolled: 1-line block ×5, first 2 shown]
	v_add_co_u32 v60, s0, 0x3000, v68
	v_add_co_ci_u32_e64 v61, s0, 0, v69, s0
	s_clause 0x3
	global_load_dwordx2 v[115:116], v[62:63], off offset:1520
	global_load_dwordx2 v[117:118], v[62:63], off offset:1912
	;; [unrolled: 1-line block ×4, first 2 shown]
	ds_read2_b64 v[60:63], v73 offset1:49
	s_waitcnt vmcnt(16) lgkmcnt(0)
	v_mul_f32_e32 v69, v61, v65
	v_mul_f32_e32 v68, v60, v65
	s_waitcnt vmcnt(15)
	v_mul_f32_e32 v70, v63, v67
	v_mul_f32_e32 v65, v62, v67
	v_fma_f32 v67, v60, v64, -v69
	v_fmac_f32_e32 v68, v61, v64
	v_fma_f32 v64, v62, v66, -v70
	v_fmac_f32_e32 v65, v63, v66
	ds_write2_b64 v73, v[67:68], v[64:65] offset1:49
	ds_read2_b64 v[60:63], v73 offset0:98 offset1:147
	ds_read2_b64 v[64:67], v73 offset0:196 offset1:245
	;; [unrolled: 1-line block ×7, first 2 shown]
	ds_read_b64 v[123:124], v73 offset:6272
	s_waitcnt vmcnt(8) lgkmcnt(4)
	v_mul_f32_e32 v134, v78, v106
	v_mul_f32_e32 v72, v77, v106
	v_mul_f32_e32 v125, v61, v94
	v_mul_f32_e32 v126, v60, v94
	v_mul_f32_e32 v129, v63, v96
	v_mul_f32_e32 v94, v62, v96
	v_mul_f32_e32 v130, v65, v98
	v_mul_f32_e32 v96, v64, v98
	v_mul_f32_e32 v131, v67, v104
	v_mul_f32_e32 v98, v66, v104
	v_mul_f32_e32 v132, v69, v100
	v_mul_f32_e32 v104, v68, v100
	v_mul_f32_e32 v133, v71, v102
	v_mul_f32_e32 v100, v70, v102
	s_waitcnt vmcnt(7)
	v_mul_f32_e32 v135, v80, v108
	v_mul_f32_e32 v102, v79, v108
	s_waitcnt vmcnt(6) lgkmcnt(3)
	v_mul_f32_e32 v136, v82, v110
	v_mul_f32_e32 v106, v81, v110
	s_waitcnt vmcnt(5)
	v_mul_f32_e32 v137, v84, v112
	v_mul_f32_e32 v108, v83, v112
	s_waitcnt vmcnt(4) lgkmcnt(2)
	v_mul_f32_e32 v138, v86, v114
	v_mul_f32_e32 v110, v85, v114
	;; [unrolled: 6-line block ×4, first 2 shown]
	v_fma_f32 v125, v60, v93, -v125
	v_fmac_f32_e32 v126, v61, v93
	v_fma_f32 v93, v62, v95, -v129
	v_fmac_f32_e32 v94, v63, v95
	;; [unrolled: 2-line block ×15, first 2 shown]
	ds_write2_b64 v73, v[125:126], v[93:94] offset0:98 offset1:147
	ds_write2_b64 v73, v[95:96], v[97:98] offset0:196 offset1:245
	;; [unrolled: 1-line block ×7, first 2 shown]
	ds_write_b64 v73, v[117:118] offset:6272
.LBB0_9:
	s_or_b32 exec_lo, exec_lo, s1
	s_waitcnt lgkmcnt(0)
	s_barrier
	buffer_gl0_inv
	s_and_saveexec_b32 s0, vcc_lo
	s_cbranch_execz .LBB0_11
; %bb.10:
	v_add_nc_u32_e32 v0, 0x800, v73
	v_add_nc_u32_e32 v1, 0xc00, v73
	v_add_nc_u32_e32 v2, 0x1000, v73
	ds_read2_b64 v[44:47], v73 offset1:49
	ds_read2_b64 v[48:51], v73 offset0:98 offset1:147
	ds_read2_b64 v[52:55], v73 offset0:196 offset1:245
	;; [unrolled: 1-line block ×7, first 2 shown]
	ds_read_b64 v[57:58], v73 offset:6272
.LBB0_11:
	s_or_b32 exec_lo, exec_lo, s0
	s_waitcnt lgkmcnt(0)
	s_barrier
	buffer_gl0_inv
	s_and_saveexec_b32 s0, vcc_lo
	s_cbranch_execz .LBB0_13
; %bb.12:
	v_add_f32_e32 v72, v58, v47
	v_sub_f32_e32 v82, v46, v57
	v_add_f32_e32 v196, v3, v49
	v_sub_f32_e32 v78, v48, v2
	v_add_f32_e32 v194, v1, v51
	v_mul_f32_e32 v96, 0xbf7ba420, v72
	v_sub_f32_e32 v79, v50, v0
	v_mul_f32_e32 v98, 0x3f6eb680, v196
	v_add_f32_e32 v189, v7, v53
	v_mul_f32_e32 v99, 0xbf59a7d5, v194
	v_fmamk_f32 v59, v82, 0x3e3c28d5, v96
	v_sub_f32_e32 v77, v52, v6
	v_fmamk_f32 v60, v78, 0xbeb8f4ab, v98
	v_add_f32_e32 v190, v5, v55
	v_mul_f32_e32 v100, 0x3f3d2fb0, v189
	v_add_f32_e32 v59, v45, v59
	v_fmamk_f32 v61, v79, 0x3f06c442, v99
	v_sub_f32_e32 v156, v47, v58
	v_sub_f32_e32 v80, v54, v4
	v_add_f32_e32 v71, v11, v13
	v_add_f32_e32 v59, v60, v59
	;; [unrolled: 1-line block ×3, first 2 shown]
	v_mul_f32_e32 v105, 0xbf1a4643, v190
	v_fmamk_f32 v60, v77, 0xbf2c7751, v100
	v_sub_f32_e32 v157, v49, v3
	v_add_f32_e32 v59, v61, v59
	v_mul_f32_e32 v104, 0xbe3c28d5, v156
	v_sub_f32_e32 v81, v12, v10
	v_mul_f32_e32 v102, 0x3ee437d1, v71
	v_fmamk_f32 v61, v80, 0x3f4c4adb, v105
	v_add_f32_e32 v59, v60, v59
	v_add_f32_e32 v85, v2, v48
	v_mul_f32_e32 v103, 0x3eb8f4ab, v157
	v_fmamk_f32 v62, v84, 0xbf7ba420, v104
	v_sub_f32_e32 v169, v51, v1
	v_fmamk_f32 v60, v81, 0xbf65296c, v102
	v_add_f32_e32 v59, v61, v59
	v_fmamk_f32 v61, v85, 0x3f6eb680, v103
	v_add_f32_e32 v62, v44, v62
	v_add_f32_e32 v87, v0, v50
	v_mul_f32_e32 v97, 0xbf06c442, v169
	v_sub_f32_e32 v176, v53, v7
	v_add_f32_e32 v179, v9, v15
	v_add_f32_e32 v59, v60, v59
	;; [unrolled: 1-line block ×3, first 2 shown]
	v_fmamk_f32 v61, v87, 0xbf59a7d5, v97
	v_add_f32_e32 v88, v6, v52
	v_mul_f32_e32 v93, 0x3f2c7751, v176
	v_sub_f32_e32 v177, v55, v5
	v_mul_f32_e32 v101, 0xbe8c1d8e, v179
	v_sub_f32_e32 v83, v14, v8
	v_add_f32_e32 v182, v31, v29
	v_add_f32_e32 v60, v61, v60
	v_fmamk_f32 v61, v88, 0x3f3d2fb0, v93
	v_add_f32_e32 v89, v4, v54
	v_mul_f32_e32 v94, 0xbf4c4adb, v177
	v_sub_f32_e32 v173, v13, v11
	v_fmamk_f32 v62, v83, 0x3f763a35, v101
	v_mul_f32_e32 v108, 0x3dbcf732, v182
	v_sub_f32_e32 v86, v28, v30
	v_add_f32_e32 v60, v61, v60
	v_fmamk_f32 v61, v89, 0xbf1a4643, v94
	v_add_f32_e32 v90, v10, v12
	v_mul_f32_e32 v95, 0x3f65296c, v173
	v_mul_f32_e32 v123, 0xbf59a7d5, v72
	v_add_f32_e32 v59, v62, v59
	v_fmamk_f32 v62, v86, 0xbf7ee86f, v108
	v_add_f32_e32 v61, v61, v60
	v_fmamk_f32 v63, v90, 0x3ee437d1, v95
	v_fmamk_f32 v64, v82, 0x3f06c442, v123
	v_mul_f32_e32 v109, 0x3ee437d1, v196
	v_add_f32_e32 v60, v62, v59
	v_sub_f32_e32 v180, v15, v9
	v_add_f32_e32 v59, v63, v61
	v_add_f32_e32 v61, v45, v64
	v_fmamk_f32 v62, v78, 0xbf65296c, v109
	v_mul_f32_e32 v110, 0x3dbcf732, v194
	v_add_f32_e32 v92, v8, v14
	v_mul_f32_e32 v106, 0xbf763a35, v180
	v_sub_f32_e32 v181, v29, v31
	v_add_f32_e32 v61, v62, v61
	v_fmamk_f32 v62, v79, 0x3f7ee86f, v110
	v_mul_f32_e32 v114, 0xbf1a4643, v189
	v_fmamk_f32 v63, v92, 0xbe8c1d8e, v106
	v_add_f32_e32 v91, v30, v28
	v_mul_f32_e32 v107, 0x3f7ee86f, v181
	v_add_f32_e32 v61, v62, v61
	v_fmamk_f32 v62, v77, 0xbf4c4adb, v114
	v_mul_f32_e32 v115, 0x3f6eb680, v190
	v_add_f32_e32 v59, v63, v59
	v_fmamk_f32 v63, v91, 0x3dbcf732, v107
	;; [unrolled: 3-line block ×85, first 2 shown]
	v_mul_f32_e32 v205, 0x3ee437d1, v179
	v_add_f32_e32 v47, v47, v45
	v_add_f32_e32 v207, v44, v134
	v_fmamk_f32 v209, v85, 0x3dbcf732, v219
	v_mul_f32_e32 v184, 0xbf4c4adb, v169
	v_add_f32_e32 v198, v198, v185
	v_fmamk_f32 v210, v83, 0xbf65296c, v205
	v_mul_f32_e32 v134, 0x3f6eb680, v182
	v_add_f32_e32 v49, v49, v47
	v_add_f32_e32 v46, v46, v44
	v_add_f32_e32 v209, v209, v207
	v_fmamk_f32 v211, v87, 0xbf1a4643, v184
	v_mul_f32_e32 v185, 0xbe3c28d5, v176
	v_add_f32_e32 v210, v210, v198
	v_fmamk_f32 v220, v86, 0xbeb8f4ab, v134
	v_mul_f32_e32 v207, 0x3f6eb680, v72
	v_add_f32_e32 v49, v51, v49
	;; [unrolled: 8-line block ×6, first 2 shown]
	v_add_f32_e32 v12, v12, v48
	v_add_f32_e32 v220, v223, v220
	v_fmamk_f32 v223, v91, 0x3f6eb680, v189
	v_add_f32_e32 v221, v222, v221
	v_fmamk_f32 v222, v80, 0x3f763a35, v190
	v_mul_f32_e32 v47, 0xbf1a4643, v71
	v_add_f32_e32 v15, v29, v15
	v_add_f32_e32 v12, v14, v12
	;; [unrolled: 1-line block ×4, first 2 shown]
	v_fmamk_f32 v51, v81, 0x3f4c4adb, v47
	v_mul_f32_e32 v46, 0xbf59a7d5, v179
	v_mul_f32_e32 v156, 0xbeb8f4ab, v156
	v_add_f32_e32 v15, v31, v15
	v_add_f32_e32 v28, v28, v12
	;; [unrolled: 1-line block ×3, first 2 shown]
	v_fmamk_f32 v51, v83, 0x3f06c442, v46
	v_fmamk_f32 v53, v84, 0x3f6eb680, v156
	v_mul_f32_e32 v52, 0xbf2c7751, v157
	v_add_f32_e32 v9, v9, v15
	v_add_f32_e32 v15, v30, v28
	v_fmac_f32_e32 v96, 0xbe3c28d5, v82
	v_add_f32_e32 v50, v51, v50
	v_add_f32_e32 v51, v44, v53
	v_fmamk_f32 v53, v85, 0x3f3d2fb0, v52
	v_mul_f32_e32 v54, 0xbf65296c, v169
	v_add_f32_e32 v9, v11, v9
	v_add_f32_e32 v8, v8, v15
	;; [unrolled: 1-line block ×3, first 2 shown]
	v_fmac_f32_e32 v98, 0x3eb8f4ab, v78
	v_mul_f32_e32 v13, 0xbf7ba420, v182
	v_add_f32_e32 v48, v53, v51
	v_fmamk_f32 v49, v87, 0x3ee437d1, v54
	v_mul_f32_e32 v51, 0xbf7ee86f, v176
	v_add_f32_e32 v5, v5, v9
	v_add_f32_e32 v8, v10, v8
	;; [unrolled: 1-line block ×3, first 2 shown]
	v_fmac_f32_e32 v99, 0xbf06c442, v79
	v_fmamk_f32 v14, v86, 0x3e3c28d5, v13
	v_add_f32_e32 v29, v49, v48
	v_fmamk_f32 v48, v88, 0x3dbcf732, v51
	v_mul_f32_e32 v31, 0xbf763a35, v177
	v_add_f32_e32 v5, v7, v5
	v_add_f32_e32 v4, v4, v8
	;; [unrolled: 1-line block ×3, first 2 shown]
	v_fmac_f32_e32 v100, 0x3f2c7751, v77
	v_add_f32_e32 v12, v14, v50
	v_add_f32_e32 v14, v48, v29
	v_fmamk_f32 v28, v89, 0xbe8c1d8e, v31
	v_mul_f32_e32 v30, 0xbf4c4adb, v173
	v_add_f32_e32 v1, v1, v5
	v_add_f32_e32 v4, v6, v4
	;; [unrolled: 1-line block ×3, first 2 shown]
	v_fmac_f32_e32 v105, 0xbf4c4adb, v80
	v_add_f32_e32 v14, v28, v14
	v_fmamk_f32 v15, v90, 0xbf1a4643, v30
	v_mul_f32_e32 v48, 0xbf06c442, v180
	v_add_f32_e32 v1, v3, v1
	v_add_f32_e32 v0, v0, v4
	;; [unrolled: 1-line block ×3, first 2 shown]
	v_fmac_f32_e32 v102, 0x3f65296c, v81
	v_add_f32_e32 v10, v15, v14
	v_fmamk_f32 v8, v92, 0xbf59a7d5, v48
	v_mul_f32_e32 v49, 0xbe3c28d5, v181
	v_fma_f32 v4, 0xbf7ba420, v84, -v104
	v_add_f32_e32 v0, v2, v0
	v_add_f32_e32 v2, v102, v3
	v_fmac_f32_e32 v101, 0xbf763a35, v83
	v_add_f32_e32 v6, v8, v10
	v_fmamk_f32 v7, v91, 0xbf7ba420, v49
	v_add_f32_e32 v3, v44, v4
	v_fma_f32 v4, 0x3f6eb680, v85, -v103
	v_fmac_f32_e32 v123, 0xbf06c442, v82
	v_add_f32_e32 v2, v101, v2
	v_fmac_f32_e32 v108, 0x3f7ee86f, v86
	v_add_f32_e32 v11, v7, v6
	v_add_f32_e32 v4, v4, v3
	v_fma_f32 v5, 0xbf59a7d5, v87, -v97
	v_add_f32_e32 v6, v45, v123
	v_fmac_f32_e32 v109, 0x3f65296c, v78
	v_add_f32_e32 v3, v108, v2
	v_fma_f32 v2, 0xbf59a7d5, v84, -v127
	v_add_f32_e32 v4, v5, v4
	v_fma_f32 v5, 0x3f3d2fb0, v88, -v93
	v_add_f32_e32 v6, v109, v6
	v_fmac_f32_e32 v110, 0xbf7ee86f, v79
	v_add_f32_e32 v2, v44, v2
	v_fma_f32 v7, 0x3ee437d1, v85, -v128
	;; [unrolled: 6-line block ×6, first 2 shown]
	v_fmac_f32_e32 v125, 0xbf4c4adb, v82
	v_add_f32_e32 v2, v5, v4
	v_add_f32_e32 v4, v116, v6
	v_fmac_f32_e32 v117, 0xbf763a35, v86
	v_add_f32_e32 v6, v8, v7
	v_fma_f32 v7, 0x3f3d2fb0, v92, -v137
	v_add_f32_e32 v8, v45, v125
	v_fmac_f32_e32 v122, 0x3f763a35, v78
	v_add_f32_e32 v5, v117, v4
	v_fma_f32 v4, 0xbf1a4643, v84, -v139
	v_add_f32_e32 v6, v7, v6
	v_fma_f32 v7, 0xbe8c1d8e, v91, -v124
	v_add_f32_e32 v8, v122, v8
	v_fmac_f32_e32 v111, 0xbeb8f4ab, v79
	v_add_f32_e32 v9, v44, v4
	v_fma_f32 v10, 0xbe8c1d8e, v85, -v141
	v_add_f32_e32 v4, v7, v6
	v_fmac_f32_e32 v159, 0xbf763a35, v82
	v_add_f32_e32 v6, v111, v8
	v_fmac_f32_e32 v112, 0xbf06c442, v77
	v_add_f32_e32 v7, v10, v9
	v_fma_f32 v8, 0x3f6eb680, v87, -v130
	v_add_f32_e32 v9, v45, v159
	v_fmac_f32_e32 v160, 0x3f06c442, v78
	;; [unrolled: 6-line block ×6, first 2 shown]
	v_add_f32_e32 v7, v120, v6
	v_fma_f32 v6, 0xbe8c1d8e, v84, -v164
	v_add_f32_e32 v8, v10, v8
	v_fma_f32 v10, 0x3ee437d1, v91, -v133
	v_add_f32_e32 v9, v165, v9
	v_fmac_f32_e32 v145, 0xbeb8f4ab, v83
	v_add_f32_e32 v14, v44, v6
	v_fma_f32 v15, 0xbf59a7d5, v85, -v166
	v_fmac_f32_e32 v178, 0xbf7ee86f, v82
	v_add_f32_e32 v6, v10, v8
	v_add_f32_e32 v8, v145, v9
	v_fmac_f32_e32 v146, 0xbf4c4adb, v86
	v_add_f32_e32 v10, v15, v14
	v_fma_f32 v14, 0x3f3d2fb0, v87, -v147
	v_add_f32_e32 v15, v45, v178
	v_fmac_f32_e32 v150, 0xbe3c28d5, v78
	v_add_f32_e32 v9, v146, v8
	v_fma_f32 v8, 0x3dbcf732, v84, -v187
	v_add_f32_e32 v10, v14, v10
	v_fma_f32 v14, 0x3ee437d1, v88, -v126
	v_add_f32_e32 v15, v150, v15
	v_fmac_f32_e32 v151, 0x3f763a35, v79
	v_add_f32_e32 v8, v44, v8
	v_fma_f32 v28, 0xbf7ba420, v85, -v188
	;; [unrolled: 6-line block ×6, first 2 shown]
	v_add_f32_e32 v8, v14, v10
	v_fmac_f32_e32 v186, 0xbf65296c, v82
	v_add_f32_e32 v10, v167, v15
	v_fmac_f32_e32 v168, 0x3f2c7751, v86
	v_add_f32_e32 v14, v29, v28
	v_fma_f32 v28, 0xbf1a4643, v92, -v199
	v_add_f32_e32 v29, v45, v186
	v_fmac_f32_e32 v175, 0xbf4c4adb, v78
	v_add_f32_e32 v15, v168, v10
	v_fma_f32 v10, 0x3ee437d1, v84, -v200
	v_add_f32_e32 v14, v28, v14
	v_fma_f32 v28, 0x3f3d2fb0, v91, -v183
	v_add_f32_e32 v29, v175, v29
	v_fmac_f32_e32 v152, 0x3e3c28d5, v79
	v_add_f32_e32 v10, v44, v10
	v_fma_f32 v50, 0xbf1a4643, v85, -v201
	v_fmac_f32_e32 v212, 0xbf2c7751, v82
	v_add_f32_e32 v14, v28, v14
	v_add_f32_e32 v28, v152, v29
	v_fmac_f32_e32 v153, 0x3f763a35, v77
	v_add_f32_e32 v10, v50, v10
	v_fma_f32 v29, 0xbf7ba420, v87, -v192
	v_add_f32_e32 v50, v45, v212
	v_fmac_f32_e32 v213, 0xbf7ee86f, v78
	v_add_f32_e32 v28, v153, v28
	v_fmac_f32_e32 v154, 0x3f2c7751, v80
	v_add_f32_e32 v10, v29, v10
	v_fma_f32 v29, 0xbe8c1d8e, v88, -v193
	v_add_f32_e32 v50, v213, v50
	v_fmac_f32_e32 v214, 0xbf4c4adb, v79
	;; [unrolled: 6-line block ×5, first 2 shown]
	v_add_f32_e32 v29, v172, v28
	v_fma_f32 v28, 0x3f3d2fb0, v84, -v217
	v_add_f32_e32 v10, v53, v10
	v_fma_f32 v53, 0xbf59a7d5, v91, -v197
	v_add_f32_e32 v50, v218, v50
	v_fmac_f32_e32 v205, 0x3f65296c, v83
	v_add_f32_e32 v55, v44, v28
	v_fmac_f32_e32 v207, 0xbeb8f4ab, v82
	v_add_f32_e32 v28, v53, v10
	v_add_f32_e32 v0, v57, v0
	;; [unrolled: 1-line block ×3, first 2 shown]
	v_fma_f32 v50, 0x3f6eb680, v84, -v156
	v_fma_f32 v57, 0x3dbcf732, v85, -v219
	v_add_f32_e32 v45, v45, v207
	v_fmac_f32_e32 v209, 0xbf2c7751, v78
	v_fmac_f32_e32 v210, 0xbf65296c, v79
	v_add_f32_e32 v44, v44, v50
	v_fma_f32 v50, 0x3f3d2fb0, v85, -v52
	v_add_f32_e32 v53, v57, v55
	v_fma_f32 v55, 0xbf1a4643, v87, -v184
	v_add_f32_e32 v45, v209, v45
	v_fmac_f32_e32 v211, 0xbf7ee86f, v77
	v_add_f32_e32 v44, v50, v44
	v_fma_f32 v50, 0x3ee437d1, v87, -v54
	v_add_f32_e32 v52, v55, v53
	v_fma_f32 v53, 0xbf7ba420, v88, -v185
	v_add_f32_e32 v45, v210, v45
	;; [unrolled: 6-line block ×3, first 2 shown]
	v_fma_f32 v31, 0xbe8c1d8e, v89, -v31
	v_add_f32_e32 v44, v50, v44
	v_fmac_f32_e32 v47, 0xbf4c4adb, v81
	v_add_f32_e32 v51, v53, v52
	v_fma_f32 v52, 0xbe8c1d8e, v90, -v196
	v_add_f32_e32 v45, v190, v45
	v_add_f32_e32 v31, v31, v44
	v_fma_f32 v30, 0xbf1a4643, v90, -v30
	v_fmac_f32_e32 v46, 0xbf06c442, v83
	v_add_f32_e32 v50, v52, v51
	v_fma_f32 v51, 0x3ee437d1, v92, -v194
	v_add_f32_e32 v45, v47, v45
	v_add_f32_e32 v30, v30, v31
	v_fma_f32 v31, 0xbf59a7d5, v92, -v48
	v_mov_b32_e32 v48, 3
	v_add_f32_e32 v1, v58, v1
	v_fmac_f32_e32 v134, 0x3eb8f4ab, v86
	v_add_f32_e32 v44, v51, v50
	v_fma_f32 v47, 0x3f6eb680, v91, -v189
	v_add_f32_e32 v45, v46, v45
	v_fmac_f32_e32 v13, 0xbe3c28d5, v86
	v_add_f32_e32 v46, v31, v30
	v_fma_f32 v49, 0xbf7ba420, v91, -v49
	v_lshlrev_b32_sdwa v48, v48, v75 dst_sel:DWORD dst_unused:UNUSED_PAD src0_sel:DWORD src1_sel:WORD_0
	v_add_f32_e32 v31, v134, v10
	v_add_f32_e32 v30, v47, v44
	;; [unrolled: 1-line block ×4, first 2 shown]
	ds_write2_b64 v48, v[0:1], v[11:12] offset1:1
	ds_write2_b64 v48, v[71:72], v[69:70] offset0:2 offset1:3
	ds_write2_b64 v48, v[67:68], v[65:66] offset0:4 offset1:5
	;; [unrolled: 1-line block ×7, first 2 shown]
	ds_write_b64 v48, v[44:45] offset:128
.LBB0_13:
	s_or_b32 exec_lo, exec_lo, s0
	s_waitcnt lgkmcnt(0)
	s_barrier
	buffer_gl0_inv
	ds_read2_b64 v[1:4], v73 offset1:119
	v_add_nc_u32_e32 v0, 0x400, v73
	v_add_nc_u32_e32 v15, 0xc00, v73
	ds_read_b64 v[13:14], v73 offset:5712
	ds_read2_b64 v[5:8], v0 offset0:110 offset1:229
	ds_read2_b64 v[9:12], v15 offset0:92 offset1:211
	s_waitcnt lgkmcnt(0)
	s_barrier
	buffer_gl0_inv
	v_mul_f32_e32 v28, v25, v4
	v_mul_f32_e32 v25, v25, v3
	;; [unrolled: 1-line block ×4, first 2 shown]
	v_fmac_f32_e32 v28, v24, v3
	v_fma_f32 v3, v24, v4, -v25
	v_mul_f32_e32 v4, v27, v6
	v_mul_f32_e32 v24, v27, v5
	;; [unrolled: 1-line block ×8, first 2 shown]
	v_fmac_f32_e32 v29, v18, v13
	v_fma_f32 v13, v18, v14, -v19
	v_fmac_f32_e32 v4, v26, v5
	v_fma_f32 v5, v26, v6, -v24
	v_fma_f32 v6, v20, v8, -v21
	v_fmac_f32_e32 v30, v16, v11
	v_fma_f32 v8, v16, v12, -v17
	v_fmac_f32_e32 v25, v20, v7
	v_fmac_f32_e32 v27, v22, v9
	v_fma_f32 v7, v22, v10, -v23
	v_add_f32_e32 v9, v28, v29
	v_add_f32_e32 v10, v3, v13
	v_sub_f32_e32 v3, v3, v13
	v_add_f32_e32 v12, v4, v30
	v_add_f32_e32 v13, v5, v8
	v_sub_f32_e32 v4, v4, v30
	v_sub_f32_e32 v5, v5, v8
	v_add_f32_e32 v8, v25, v27
	v_add_f32_e32 v14, v6, v7
	v_sub_f32_e32 v16, v27, v25
	;; [unrolled: 4-line block ×3, first 2 shown]
	v_sub_f32_e32 v18, v12, v9
	v_sub_f32_e32 v19, v13, v10
	;; [unrolled: 1-line block ×6, first 2 shown]
	v_add_f32_e32 v20, v16, v4
	v_add_f32_e32 v21, v6, v5
	v_sub_f32_e32 v22, v16, v4
	v_sub_f32_e32 v23, v6, v5
	v_add_f32_e32 v7, v8, v7
	v_add_f32_e32 v8, v14, v17
	v_sub_f32_e32 v4, v4, v11
	v_sub_f32_e32 v5, v5, v3
	;; [unrolled: 1-line block ×4, first 2 shown]
	v_add_f32_e32 v11, v20, v11
	v_add_f32_e32 v3, v21, v3
	;; [unrolled: 1-line block ×4, first 2 shown]
	v_mul_f32_e32 v9, 0x3f4a47b2, v9
	v_mul_f32_e32 v10, 0x3f4a47b2, v10
	;; [unrolled: 1-line block ×8, first 2 shown]
	v_fmamk_f32 v7, v7, 0xbf955555, v1
	v_fmamk_f32 v8, v8, 0xbf955555, v2
	;; [unrolled: 1-line block ×4, first 2 shown]
	v_fma_f32 v14, 0x3f3bfb3b, v18, -v14
	v_fma_f32 v17, 0x3f3bfb3b, v19, -v17
	;; [unrolled: 1-line block ×4, first 2 shown]
	v_fmamk_f32 v18, v16, 0xbeae86e6, v20
	v_fmamk_f32 v19, v6, 0xbeae86e6, v21
	v_fma_f32 v20, 0xbf5ff5aa, v4, -v20
	v_fma_f32 v21, 0xbf5ff5aa, v5, -v21
	;; [unrolled: 1-line block ×4, first 2 shown]
	v_add_f32_e32 v23, v12, v7
	v_add_f32_e32 v24, v13, v8
	v_fmac_f32_e32 v18, 0xbee1c552, v11
	v_fmac_f32_e32 v19, 0xbee1c552, v3
	v_add_f32_e32 v12, v14, v7
	v_add_f32_e32 v13, v17, v8
	;; [unrolled: 1-line block ×4, first 2 shown]
	v_fmac_f32_e32 v20, 0xbee1c552, v11
	v_fmac_f32_e32 v22, 0xbee1c552, v3
	;; [unrolled: 1-line block ×4, first 2 shown]
	v_add_f32_e32 v3, v19, v23
	v_sub_f32_e32 v4, v24, v18
	v_add_f32_e32 v5, v22, v14
	v_sub_f32_e32 v6, v17, v16
	v_sub_f32_e32 v7, v12, v21
	v_add_f32_e32 v8, v20, v13
	v_add_f32_e32 v9, v21, v12
	v_sub_f32_e32 v10, v13, v20
	v_sub_f32_e32 v11, v14, v22
	v_add_f32_e32 v12, v16, v17
	v_sub_f32_e32 v13, v23, v19
	v_add_f32_e32 v14, v18, v24
	ds_write2_b64 v76, v[1:2], v[3:4] offset1:17
	ds_write2_b64 v76, v[5:6], v[7:8] offset0:34 offset1:51
	ds_write2_b64 v76, v[9:10], v[11:12] offset0:68 offset1:85
	ds_write_b64 v76, v[13:14] offset:816
	s_waitcnt lgkmcnt(0)
	s_barrier
	buffer_gl0_inv
	ds_read2_b64 v[1:4], v73 offset1:119
	ds_read2_b64 v[5:8], v0 offset0:110 offset1:229
	ds_read2_b64 v[9:12], v15 offset0:92 offset1:211
	ds_read_b64 v[13:14], v73 offset:5712
	s_waitcnt lgkmcnt(3)
	v_mul_f32_e32 v16, v41, v4
	v_mul_f32_e32 v17, v41, v3
	s_waitcnt lgkmcnt(2)
	v_mul_f32_e32 v18, v37, v8
	v_mul_f32_e32 v19, v37, v7
	s_waitcnt lgkmcnt(1)
	v_mul_f32_e32 v20, v39, v10
	v_fmac_f32_e32 v16, v40, v3
	v_fma_f32 v3, v40, v4, -v17
	v_mul_f32_e32 v4, v43, v6
	v_mul_f32_e32 v17, v43, v5
	v_fmac_f32_e32 v18, v36, v7
	v_fmac_f32_e32 v20, v38, v9
	s_waitcnt lgkmcnt(0)
	v_mul_f32_e32 v7, v35, v14
	v_fmac_f32_e32 v4, v42, v5
	v_fma_f32 v5, v42, v6, -v17
	v_fma_f32 v6, v36, v8, -v19
	v_mul_f32_e32 v8, v35, v13
	v_mul_f32_e32 v9, v39, v9
	v_mul_f32_e32 v17, v33, v12
	v_mul_f32_e32 v19, v33, v11
	v_fmac_f32_e32 v7, v34, v13
	v_fma_f32 v8, v34, v14, -v8
	v_fma_f32 v9, v38, v10, -v9
	v_fmac_f32_e32 v17, v32, v11
	v_fma_f32 v10, v32, v12, -v19
	v_add_f32_e32 v11, v16, v7
	v_add_f32_e32 v12, v3, v8
	v_sub_f32_e32 v3, v3, v8
	v_add_f32_e32 v8, v4, v17
	v_add_f32_e32 v13, v5, v10
	v_sub_f32_e32 v7, v16, v7
	v_sub_f32_e32 v4, v4, v17
	;; [unrolled: 1-line block ×3, first 2 shown]
	v_add_f32_e32 v10, v18, v20
	v_add_f32_e32 v14, v6, v9
	v_sub_f32_e32 v16, v20, v18
	v_sub_f32_e32 v6, v9, v6
	v_add_f32_e32 v9, v8, v11
	v_add_f32_e32 v17, v13, v12
	v_sub_f32_e32 v18, v8, v11
	v_sub_f32_e32 v19, v13, v12
	;; [unrolled: 1-line block ×6, first 2 shown]
	v_add_f32_e32 v20, v16, v4
	v_add_f32_e32 v21, v6, v5
	v_sub_f32_e32 v22, v16, v4
	v_sub_f32_e32 v23, v6, v5
	v_add_f32_e32 v9, v10, v9
	v_add_f32_e32 v10, v14, v17
	v_sub_f32_e32 v4, v4, v7
	v_sub_f32_e32 v5, v5, v3
	v_sub_f32_e32 v16, v7, v16
	v_sub_f32_e32 v6, v3, v6
	v_add_f32_e32 v7, v20, v7
	v_add_f32_e32 v3, v21, v3
	;; [unrolled: 1-line block ×4, first 2 shown]
	v_mul_f32_e32 v11, 0x3f4a47b2, v11
	v_mul_f32_e32 v12, 0x3f4a47b2, v12
	;; [unrolled: 1-line block ×8, first 2 shown]
	v_fmamk_f32 v9, v9, 0xbf955555, v1
	v_fmamk_f32 v10, v10, 0xbf955555, v2
	;; [unrolled: 1-line block ×4, first 2 shown]
	v_fma_f32 v14, 0x3f3bfb3b, v18, -v14
	v_fma_f32 v17, 0x3f3bfb3b, v19, -v17
	;; [unrolled: 1-line block ×4, first 2 shown]
	v_fmamk_f32 v18, v16, 0xbeae86e6, v20
	v_fmamk_f32 v19, v6, 0xbeae86e6, v21
	v_fma_f32 v20, 0xbf5ff5aa, v4, -v20
	v_fma_f32 v21, 0xbf5ff5aa, v5, -v21
	;; [unrolled: 1-line block ×4, first 2 shown]
	v_add_f32_e32 v23, v8, v9
	v_add_f32_e32 v24, v13, v10
	v_fmac_f32_e32 v18, 0xbee1c552, v7
	v_fmac_f32_e32 v19, 0xbee1c552, v3
	v_add_f32_e32 v13, v14, v9
	v_add_f32_e32 v14, v17, v10
	;; [unrolled: 1-line block ×4, first 2 shown]
	v_fmac_f32_e32 v20, 0xbee1c552, v7
	v_fmac_f32_e32 v22, 0xbee1c552, v3
	;; [unrolled: 1-line block ×4, first 2 shown]
	v_add_f32_e32 v3, v19, v23
	v_sub_f32_e32 v4, v24, v18
	v_add_f32_e32 v5, v22, v11
	v_sub_f32_e32 v6, v12, v16
	v_sub_f32_e32 v7, v13, v21
	v_add_f32_e32 v8, v20, v14
	v_add_f32_e32 v9, v21, v13
	v_sub_f32_e32 v10, v14, v20
	v_sub_f32_e32 v11, v11, v22
	v_add_f32_e32 v12, v16, v12
	v_sub_f32_e32 v13, v23, v19
	v_add_f32_e32 v14, v18, v24
	ds_write2_b64 v73, v[1:2], v[3:4] offset1:119
	ds_write2_b64 v0, v[5:6], v[7:8] offset0:110 offset1:229
	ds_write2_b64 v15, v[9:10], v[11:12] offset0:92 offset1:211
	ds_write_b64 v73, v[13:14] offset:5712
	s_waitcnt lgkmcnt(0)
	s_barrier
	buffer_gl0_inv
	s_and_b32 exec_lo, exec_lo, vcc_lo
	s_cbranch_execz .LBB0_15
; %bb.14:
	global_load_dwordx2 v[1:2], v73, s[12:13]
	ds_read_b64 v[3:4], v73
	s_mov_b32 s0, 0xca869b81
	s_mov_b32 s1, 0x3f53ab2d
	v_mad_u64_u32 v[7:8], null, s4, v74, 0
	s_mul_i32 s2, s5, 0x188
	s_mul_i32 s3, s4, 0x188
	v_add_nc_u32_e32 v12, 0x800, v73
	s_waitcnt vmcnt(0) lgkmcnt(0)
	v_mul_f32_e32 v5, v4, v2
	v_mul_f32_e32 v2, v3, v2
	v_fmac_f32_e32 v5, v3, v1
	v_fma_f32 v3, v1, v4, -v2
	v_cvt_f64_f32_e32 v[1:2], v5
	v_cvt_f64_f32_e32 v[3:4], v3
	v_mad_u64_u32 v[5:6], null, s6, v56, 0
	v_mad_u64_u32 v[9:10], null, s7, v56, v[6:7]
	;; [unrolled: 1-line block ×3, first 2 shown]
	v_mov_b32_e32 v6, v9
	s_mul_hi_u32 s5, s4, 0x188
	v_mul_f64 v[1:2], v[1:2], s[0:1]
	v_mul_f64 v[3:4], v[3:4], s[0:1]
	s_add_i32 s2, s5, s2
	v_mov_b32_e32 v8, v10
	v_add_co_u32 v10, s4, s12, v73
	v_add_co_ci_u32_e64 v11, null, s13, 0, s4
	v_cvt_f32_f64_e32 v1, v[1:2]
	v_cvt_f32_f64_e32 v2, v[3:4]
	v_lshlrev_b64 v[3:4], 3, v[5:6]
	v_lshlrev_b64 v[5:6], 3, v[7:8]
	v_add_co_u32 v3, vcc_lo, s14, v3
	v_add_co_ci_u32_e32 v4, vcc_lo, s15, v4, vcc_lo
	v_add_co_u32 v5, vcc_lo, v3, v5
	v_add_co_ci_u32_e32 v6, vcc_lo, v4, v6, vcc_lo
	global_store_dwordx2 v[5:6], v[1:2], off
	global_load_dwordx2 v[7:8], v73, s[12:13] offset:392
	ds_read2_b64 v[1:4], v73 offset0:49 offset1:98
	v_add_co_u32 v5, vcc_lo, v5, s3
	v_add_co_ci_u32_e32 v6, vcc_lo, s2, v6, vcc_lo
	s_waitcnt vmcnt(0) lgkmcnt(0)
	v_mul_f32_e32 v9, v2, v8
	v_mul_f32_e32 v8, v1, v8
	v_fmac_f32_e32 v9, v1, v7
	v_fma_f32 v7, v7, v2, -v8
	v_cvt_f64_f32_e32 v[1:2], v9
	v_cvt_f64_f32_e32 v[7:8], v7
	v_mul_f64 v[1:2], v[1:2], s[0:1]
	v_mul_f64 v[7:8], v[7:8], s[0:1]
	v_cvt_f32_f64_e32 v1, v[1:2]
	v_cvt_f32_f64_e32 v2, v[7:8]
	global_store_dwordx2 v[5:6], v[1:2], off
	global_load_dwordx2 v[1:2], v73, s[12:13] offset:784
	v_add_co_u32 v5, vcc_lo, v5, s3
	v_add_co_ci_u32_e32 v6, vcc_lo, s2, v6, vcc_lo
	s_waitcnt vmcnt(0)
	v_mul_f32_e32 v7, v4, v2
	v_mul_f32_e32 v2, v3, v2
	v_fmac_f32_e32 v7, v3, v1
	v_fma_f32 v3, v1, v4, -v2
	v_cvt_f64_f32_e32 v[1:2], v7
	v_cvt_f64_f32_e32 v[3:4], v3
	v_mul_f64 v[1:2], v[1:2], s[0:1]
	v_mul_f64 v[3:4], v[3:4], s[0:1]
	v_cvt_f32_f64_e32 v1, v[1:2]
	v_cvt_f32_f64_e32 v2, v[3:4]
	global_store_dwordx2 v[5:6], v[1:2], off
	global_load_dwordx2 v[7:8], v73, s[12:13] offset:1176
	ds_read2_b64 v[1:4], v73 offset0:147 offset1:196
	v_add_co_u32 v5, vcc_lo, v5, s3
	v_add_co_ci_u32_e32 v6, vcc_lo, s2, v6, vcc_lo
	s_waitcnt vmcnt(0) lgkmcnt(0)
	v_mul_f32_e32 v9, v2, v8
	v_mul_f32_e32 v8, v1, v8
	v_fmac_f32_e32 v9, v1, v7
	v_fma_f32 v7, v7, v2, -v8
	v_cvt_f64_f32_e32 v[1:2], v9
	v_cvt_f64_f32_e32 v[7:8], v7
	v_mul_f64 v[1:2], v[1:2], s[0:1]
	v_mul_f64 v[7:8], v[7:8], s[0:1]
	v_cvt_f32_f64_e32 v1, v[1:2]
	v_cvt_f32_f64_e32 v2, v[7:8]
	global_store_dwordx2 v[5:6], v[1:2], off
	global_load_dwordx2 v[1:2], v73, s[12:13] offset:1568
	s_waitcnt vmcnt(0)
	v_mul_f32_e32 v7, v4, v2
	v_mul_f32_e32 v2, v3, v2
	v_fmac_f32_e32 v7, v3, v1
	v_fma_f32 v3, v1, v4, -v2
	v_cvt_f64_f32_e32 v[1:2], v7
	v_cvt_f64_f32_e32 v[3:4], v3
	v_mul_f64 v[1:2], v[1:2], s[0:1]
	v_mul_f64 v[3:4], v[3:4], s[0:1]
	v_cvt_f32_f64_e32 v1, v[1:2]
	v_cvt_f32_f64_e32 v2, v[3:4]
	v_add_co_u32 v4, vcc_lo, v5, s3
	v_add_co_ci_u32_e32 v5, vcc_lo, s2, v6, vcc_lo
	global_store_dwordx2 v[4:5], v[1:2], off
	global_load_dwordx2 v[6:7], v73, s[12:13] offset:1960
	ds_read2_b64 v[0:3], v0 offset0:117 offset1:166
	v_add_co_u32 v4, vcc_lo, v4, s3
	v_add_co_ci_u32_e32 v5, vcc_lo, s2, v5, vcc_lo
	s_waitcnt vmcnt(0) lgkmcnt(0)
	v_mul_f32_e32 v8, v1, v7
	v_mul_f32_e32 v7, v0, v7
	v_fmac_f32_e32 v8, v0, v6
	v_fma_f32 v6, v6, v1, -v7
	v_cvt_f64_f32_e32 v[0:1], v8
	v_cvt_f64_f32_e32 v[6:7], v6
	v_mul_f64 v[0:1], v[0:1], s[0:1]
	v_mul_f64 v[6:7], v[6:7], s[0:1]
	v_cvt_f32_f64_e32 v0, v[0:1]
	v_cvt_f32_f64_e32 v1, v[6:7]
	v_add_co_u32 v6, vcc_lo, 0x800, v10
	v_add_co_ci_u32_e32 v7, vcc_lo, 0, v11, vcc_lo
	global_store_dwordx2 v[4:5], v[0:1], off
	global_load_dwordx2 v[0:1], v[6:7], off offset:304
	v_add_co_u32 v4, vcc_lo, v4, s3
	v_add_co_ci_u32_e32 v5, vcc_lo, s2, v5, vcc_lo
	s_waitcnt vmcnt(0)
	v_mul_f32_e32 v8, v3, v1
	v_mul_f32_e32 v1, v2, v1
	v_fmac_f32_e32 v8, v2, v0
	v_fma_f32 v2, v0, v3, -v1
	v_cvt_f64_f32_e32 v[0:1], v8
	v_cvt_f64_f32_e32 v[2:3], v2
	v_mul_f64 v[0:1], v[0:1], s[0:1]
	v_mul_f64 v[2:3], v[2:3], s[0:1]
	v_cvt_f32_f64_e32 v0, v[0:1]
	v_cvt_f32_f64_e32 v1, v[2:3]
	global_store_dwordx2 v[4:5], v[0:1], off
	global_load_dwordx2 v[8:9], v[6:7], off offset:696
	ds_read2_b64 v[0:3], v12 offset0:87 offset1:136
	v_add_co_u32 v4, vcc_lo, v4, s3
	v_add_co_ci_u32_e32 v5, vcc_lo, s2, v5, vcc_lo
	s_waitcnt vmcnt(0) lgkmcnt(0)
	v_mul_f32_e32 v13, v1, v9
	v_mul_f32_e32 v9, v0, v9
	v_fmac_f32_e32 v13, v0, v8
	v_fma_f32 v8, v8, v1, -v9
	v_cvt_f64_f32_e32 v[0:1], v13
	v_cvt_f64_f32_e32 v[8:9], v8
	v_mul_f64 v[0:1], v[0:1], s[0:1]
	v_mul_f64 v[8:9], v[8:9], s[0:1]
	v_cvt_f32_f64_e32 v0, v[0:1]
	v_cvt_f32_f64_e32 v1, v[8:9]
	global_store_dwordx2 v[4:5], v[0:1], off
	global_load_dwordx2 v[0:1], v[6:7], off offset:1088
	v_add_co_u32 v4, vcc_lo, v4, s3
	v_add_co_ci_u32_e32 v5, vcc_lo, s2, v5, vcc_lo
	s_waitcnt vmcnt(0)
	v_mul_f32_e32 v8, v3, v1
	v_mul_f32_e32 v1, v2, v1
	v_fmac_f32_e32 v8, v2, v0
	v_fma_f32 v2, v0, v3, -v1
	v_cvt_f64_f32_e32 v[0:1], v8
	v_cvt_f64_f32_e32 v[2:3], v2
	v_mul_f64 v[0:1], v[0:1], s[0:1]
	v_mul_f64 v[2:3], v[2:3], s[0:1]
	v_cvt_f32_f64_e32 v0, v[0:1]
	v_cvt_f32_f64_e32 v1, v[2:3]
	global_store_dwordx2 v[4:5], v[0:1], off
	global_load_dwordx2 v[8:9], v[6:7], off offset:1480
	ds_read2_b64 v[0:3], v12 offset0:185 offset1:234
	v_add_co_u32 v4, vcc_lo, v4, s3
	v_add_co_ci_u32_e32 v5, vcc_lo, s2, v5, vcc_lo
	s_waitcnt vmcnt(0) lgkmcnt(0)
	v_mul_f32_e32 v12, v1, v9
	v_mul_f32_e32 v9, v0, v9
	v_fmac_f32_e32 v12, v0, v8
	v_fma_f32 v8, v8, v1, -v9
	v_cvt_f64_f32_e32 v[0:1], v12
	v_cvt_f64_f32_e32 v[8:9], v8
	v_add_nc_u32_e32 v12, 0x1000, v73
	v_mul_f64 v[0:1], v[0:1], s[0:1]
	v_mul_f64 v[8:9], v[8:9], s[0:1]
	v_cvt_f32_f64_e32 v0, v[0:1]
	v_cvt_f32_f64_e32 v1, v[8:9]
	global_store_dwordx2 v[4:5], v[0:1], off
	global_load_dwordx2 v[0:1], v[6:7], off offset:1872
	v_add_co_u32 v4, vcc_lo, v4, s3
	v_add_co_ci_u32_e32 v5, vcc_lo, s2, v5, vcc_lo
	s_waitcnt vmcnt(0)
	v_mul_f32_e32 v6, v3, v1
	v_mul_f32_e32 v1, v2, v1
	v_fmac_f32_e32 v6, v2, v0
	v_fma_f32 v2, v0, v3, -v1
	v_cvt_f64_f32_e32 v[0:1], v6
	v_cvt_f64_f32_e32 v[2:3], v2
	v_add_co_u32 v6, vcc_lo, 0x1000, v10
	v_add_co_ci_u32_e32 v7, vcc_lo, 0, v11, vcc_lo
	v_mul_f64 v[0:1], v[0:1], s[0:1]
	v_mul_f64 v[2:3], v[2:3], s[0:1]
	v_cvt_f32_f64_e32 v0, v[0:1]
	v_cvt_f32_f64_e32 v1, v[2:3]
	global_store_dwordx2 v[4:5], v[0:1], off
	global_load_dwordx2 v[8:9], v[6:7], off offset:216
	ds_read2_b64 v[0:3], v12 offset0:27 offset1:76
	v_add_co_u32 v4, vcc_lo, v4, s3
	v_add_co_ci_u32_e32 v5, vcc_lo, s2, v5, vcc_lo
	s_waitcnt vmcnt(0) lgkmcnt(0)
	v_mul_f32_e32 v13, v1, v9
	v_mul_f32_e32 v9, v0, v9
	v_fmac_f32_e32 v13, v0, v8
	v_fma_f32 v8, v8, v1, -v9
	v_cvt_f64_f32_e32 v[0:1], v13
	v_cvt_f64_f32_e32 v[8:9], v8
	v_mul_f64 v[0:1], v[0:1], s[0:1]
	v_mul_f64 v[8:9], v[8:9], s[0:1]
	v_cvt_f32_f64_e32 v0, v[0:1]
	v_cvt_f32_f64_e32 v1, v[8:9]
	global_store_dwordx2 v[4:5], v[0:1], off
	global_load_dwordx2 v[0:1], v[6:7], off offset:608
	v_add_co_u32 v4, vcc_lo, v4, s3
	v_add_co_ci_u32_e32 v5, vcc_lo, s2, v5, vcc_lo
	s_waitcnt vmcnt(0)
	v_mul_f32_e32 v8, v3, v1
	v_mul_f32_e32 v1, v2, v1
	v_fmac_f32_e32 v8, v2, v0
	v_fma_f32 v2, v0, v3, -v1
	v_cvt_f64_f32_e32 v[0:1], v8
	v_cvt_f64_f32_e32 v[2:3], v2
	v_mul_f64 v[0:1], v[0:1], s[0:1]
	v_mul_f64 v[2:3], v[2:3], s[0:1]
	v_cvt_f32_f64_e32 v0, v[0:1]
	v_cvt_f32_f64_e32 v1, v[2:3]
	global_store_dwordx2 v[4:5], v[0:1], off
	global_load_dwordx2 v[8:9], v[6:7], off offset:1000
	ds_read2_b64 v[0:3], v12 offset0:125 offset1:174
	v_add_co_u32 v4, vcc_lo, v4, s3
	v_add_co_ci_u32_e32 v5, vcc_lo, s2, v5, vcc_lo
	s_waitcnt vmcnt(0) lgkmcnt(0)
	v_mul_f32_e32 v12, v1, v9
	v_mul_f32_e32 v9, v0, v9
	v_fmac_f32_e32 v12, v0, v8
	v_fma_f32 v8, v8, v1, -v9
	v_cvt_f64_f32_e32 v[0:1], v12
	v_cvt_f64_f32_e32 v[8:9], v8
	v_mul_f64 v[0:1], v[0:1], s[0:1]
	v_mul_f64 v[8:9], v[8:9], s[0:1]
	v_cvt_f32_f64_e32 v0, v[0:1]
	v_cvt_f32_f64_e32 v1, v[8:9]
	global_store_dwordx2 v[4:5], v[0:1], off
	global_load_dwordx2 v[0:1], v[6:7], off offset:1392
	v_add_co_u32 v4, vcc_lo, v4, s3
	v_add_co_ci_u32_e32 v5, vcc_lo, s2, v5, vcc_lo
	s_waitcnt vmcnt(0)
	v_mul_f32_e32 v8, v3, v1
	v_mul_f32_e32 v1, v2, v1
	v_fmac_f32_e32 v8, v2, v0
	v_fma_f32 v2, v0, v3, -v1
	v_cvt_f64_f32_e32 v[0:1], v8
	v_cvt_f64_f32_e32 v[2:3], v2
	v_mul_f64 v[0:1], v[0:1], s[0:1]
	v_mul_f64 v[2:3], v[2:3], s[0:1]
	v_cvt_f32_f64_e32 v0, v[0:1]
	v_cvt_f32_f64_e32 v1, v[2:3]
	global_store_dwordx2 v[4:5], v[0:1], off
	global_load_dwordx2 v[6:7], v[6:7], off offset:1784
	v_add_nc_u32_e32 v0, 0x1400, v73
	v_add_co_u32 v4, vcc_lo, v4, s3
	v_add_co_ci_u32_e32 v5, vcc_lo, s2, v5, vcc_lo
	ds_read2_b64 v[0:3], v0 offset0:95 offset1:144
	s_waitcnt vmcnt(0) lgkmcnt(0)
	v_mul_f32_e32 v8, v1, v7
	v_mul_f32_e32 v7, v0, v7
	v_fmac_f32_e32 v8, v0, v6
	v_fma_f32 v6, v6, v1, -v7
	v_cvt_f64_f32_e32 v[0:1], v8
	v_cvt_f64_f32_e32 v[6:7], v6
	v_mul_f64 v[0:1], v[0:1], s[0:1]
	v_mul_f64 v[6:7], v[6:7], s[0:1]
	v_cvt_f32_f64_e32 v0, v[0:1]
	v_cvt_f32_f64_e32 v1, v[6:7]
	v_add_co_u32 v6, vcc_lo, 0x1800, v10
	v_add_co_ci_u32_e32 v7, vcc_lo, 0, v11, vcc_lo
	global_store_dwordx2 v[4:5], v[0:1], off
	global_load_dwordx2 v[0:1], v[6:7], off offset:128
	s_waitcnt vmcnt(0)
	v_mul_f32_e32 v6, v3, v1
	v_mul_f32_e32 v1, v2, v1
	v_fmac_f32_e32 v6, v2, v0
	v_fma_f32 v2, v0, v3, -v1
	v_cvt_f64_f32_e32 v[0:1], v6
	v_cvt_f64_f32_e32 v[2:3], v2
	v_mul_f64 v[0:1], v[0:1], s[0:1]
	v_mul_f64 v[2:3], v[2:3], s[0:1]
	v_cvt_f32_f64_e32 v0, v[0:1]
	v_cvt_f32_f64_e32 v1, v[2:3]
	v_add_co_u32 v2, vcc_lo, v4, s3
	v_add_co_ci_u32_e32 v3, vcc_lo, s2, v5, vcc_lo
	global_store_dwordx2 v[2:3], v[0:1], off
.LBB0_15:
	s_endpgm
	.section	.rodata,"a",@progbits
	.p2align	6, 0x0
	.amdhsa_kernel bluestein_single_fwd_len833_dim1_sp_op_CI_CI
		.amdhsa_group_segment_fixed_size 6664
		.amdhsa_private_segment_fixed_size 0
		.amdhsa_kernarg_size 104
		.amdhsa_user_sgpr_count 6
		.amdhsa_user_sgpr_private_segment_buffer 1
		.amdhsa_user_sgpr_dispatch_ptr 0
		.amdhsa_user_sgpr_queue_ptr 0
		.amdhsa_user_sgpr_kernarg_segment_ptr 1
		.amdhsa_user_sgpr_dispatch_id 0
		.amdhsa_user_sgpr_flat_scratch_init 0
		.amdhsa_user_sgpr_private_segment_size 0
		.amdhsa_wavefront_size32 1
		.amdhsa_uses_dynamic_stack 0
		.amdhsa_system_sgpr_private_segment_wavefront_offset 0
		.amdhsa_system_sgpr_workgroup_id_x 1
		.amdhsa_system_sgpr_workgroup_id_y 0
		.amdhsa_system_sgpr_workgroup_id_z 0
		.amdhsa_system_sgpr_workgroup_info 0
		.amdhsa_system_vgpr_workitem_id 0
		.amdhsa_next_free_vgpr 240
		.amdhsa_next_free_sgpr 16
		.amdhsa_reserve_vcc 1
		.amdhsa_reserve_flat_scratch 0
		.amdhsa_float_round_mode_32 0
		.amdhsa_float_round_mode_16_64 0
		.amdhsa_float_denorm_mode_32 3
		.amdhsa_float_denorm_mode_16_64 3
		.amdhsa_dx10_clamp 1
		.amdhsa_ieee_mode 1
		.amdhsa_fp16_overflow 0
		.amdhsa_workgroup_processor_mode 1
		.amdhsa_memory_ordered 1
		.amdhsa_forward_progress 0
		.amdhsa_shared_vgpr_count 0
		.amdhsa_exception_fp_ieee_invalid_op 0
		.amdhsa_exception_fp_denorm_src 0
		.amdhsa_exception_fp_ieee_div_zero 0
		.amdhsa_exception_fp_ieee_overflow 0
		.amdhsa_exception_fp_ieee_underflow 0
		.amdhsa_exception_fp_ieee_inexact 0
		.amdhsa_exception_int_div_zero 0
	.end_amdhsa_kernel
	.text
.Lfunc_end0:
	.size	bluestein_single_fwd_len833_dim1_sp_op_CI_CI, .Lfunc_end0-bluestein_single_fwd_len833_dim1_sp_op_CI_CI
                                        ; -- End function
	.section	.AMDGPU.csdata,"",@progbits
; Kernel info:
; codeLenInByte = 17028
; NumSgprs: 18
; NumVgprs: 240
; ScratchSize: 0
; MemoryBound: 0
; FloatMode: 240
; IeeeMode: 1
; LDSByteSize: 6664 bytes/workgroup (compile time only)
; SGPRBlocks: 2
; VGPRBlocks: 29
; NumSGPRsForWavesPerEU: 18
; NumVGPRsForWavesPerEU: 240
; Occupancy: 4
; WaveLimiterHint : 1
; COMPUTE_PGM_RSRC2:SCRATCH_EN: 0
; COMPUTE_PGM_RSRC2:USER_SGPR: 6
; COMPUTE_PGM_RSRC2:TRAP_HANDLER: 0
; COMPUTE_PGM_RSRC2:TGID_X_EN: 1
; COMPUTE_PGM_RSRC2:TGID_Y_EN: 0
; COMPUTE_PGM_RSRC2:TGID_Z_EN: 0
; COMPUTE_PGM_RSRC2:TIDIG_COMP_CNT: 0
	.text
	.p2alignl 6, 3214868480
	.fill 48, 4, 3214868480
	.type	__hip_cuid_63b957e6377429c7,@object ; @__hip_cuid_63b957e6377429c7
	.section	.bss,"aw",@nobits
	.globl	__hip_cuid_63b957e6377429c7
__hip_cuid_63b957e6377429c7:
	.byte	0                               ; 0x0
	.size	__hip_cuid_63b957e6377429c7, 1

	.ident	"AMD clang version 19.0.0git (https://github.com/RadeonOpenCompute/llvm-project roc-6.4.0 25133 c7fe45cf4b819c5991fe208aaa96edf142730f1d)"
	.section	".note.GNU-stack","",@progbits
	.addrsig
	.addrsig_sym __hip_cuid_63b957e6377429c7
	.amdgpu_metadata
---
amdhsa.kernels:
  - .args:
      - .actual_access:  read_only
        .address_space:  global
        .offset:         0
        .size:           8
        .value_kind:     global_buffer
      - .actual_access:  read_only
        .address_space:  global
        .offset:         8
        .size:           8
        .value_kind:     global_buffer
      - .actual_access:  read_only
        .address_space:  global
        .offset:         16
        .size:           8
        .value_kind:     global_buffer
      - .actual_access:  read_only
        .address_space:  global
        .offset:         24
        .size:           8
        .value_kind:     global_buffer
      - .actual_access:  read_only
        .address_space:  global
        .offset:         32
        .size:           8
        .value_kind:     global_buffer
      - .offset:         40
        .size:           8
        .value_kind:     by_value
      - .address_space:  global
        .offset:         48
        .size:           8
        .value_kind:     global_buffer
      - .address_space:  global
        .offset:         56
        .size:           8
        .value_kind:     global_buffer
      - .address_space:  global
        .offset:         64
        .size:           8
        .value_kind:     global_buffer
      - .address_space:  global
        .offset:         72
        .size:           8
        .value_kind:     global_buffer
      - .offset:         80
        .size:           4
        .value_kind:     by_value
      - .address_space:  global
        .offset:         88
        .size:           8
        .value_kind:     global_buffer
      - .address_space:  global
        .offset:         96
        .size:           8
        .value_kind:     global_buffer
    .group_segment_fixed_size: 6664
    .kernarg_segment_align: 8
    .kernarg_segment_size: 104
    .language:       OpenCL C
    .language_version:
      - 2
      - 0
    .max_flat_workgroup_size: 119
    .name:           bluestein_single_fwd_len833_dim1_sp_op_CI_CI
    .private_segment_fixed_size: 0
    .sgpr_count:     18
    .sgpr_spill_count: 0
    .symbol:         bluestein_single_fwd_len833_dim1_sp_op_CI_CI.kd
    .uniform_work_group_size: 1
    .uses_dynamic_stack: false
    .vgpr_count:     240
    .vgpr_spill_count: 0
    .wavefront_size: 32
    .workgroup_processor_mode: 1
amdhsa.target:   amdgcn-amd-amdhsa--gfx1030
amdhsa.version:
  - 1
  - 2
...

	.end_amdgpu_metadata
